;; amdgpu-corpus repo=ROCm/rocFFT kind=compiled arch=gfx906 opt=O3
	.text
	.amdgcn_target "amdgcn-amd-amdhsa--gfx906"
	.amdhsa_code_object_version 6
	.protected	fft_rtc_back_len845_factors_13_5_13_wgs_195_tpt_65_halfLds_dp_op_CI_CI_unitstride_sbrr_dirReg ; -- Begin function fft_rtc_back_len845_factors_13_5_13_wgs_195_tpt_65_halfLds_dp_op_CI_CI_unitstride_sbrr_dirReg
	.globl	fft_rtc_back_len845_factors_13_5_13_wgs_195_tpt_65_halfLds_dp_op_CI_CI_unitstride_sbrr_dirReg
	.p2align	8
	.type	fft_rtc_back_len845_factors_13_5_13_wgs_195_tpt_65_halfLds_dp_op_CI_CI_unitstride_sbrr_dirReg,@function
fft_rtc_back_len845_factors_13_5_13_wgs_195_tpt_65_halfLds_dp_op_CI_CI_unitstride_sbrr_dirReg: ; @fft_rtc_back_len845_factors_13_5_13_wgs_195_tpt_65_halfLds_dp_op_CI_CI_unitstride_sbrr_dirReg
; %bb.0:
	s_load_dwordx4 s[8:11], s[4:5], 0x58
	s_load_dwordx4 s[12:15], s[4:5], 0x0
	;; [unrolled: 1-line block ×3, first 2 shown]
	v_mul_u32_u24_e32 v1, 0x3f1, v0
	v_lshrrev_b32_e32 v1, 16, v1
	v_mad_u64_u32 v[1:2], s[0:1], s6, 3, v[1:2]
	v_mov_b32_e32 v5, 0
	v_mov_b32_e32 v3, 0
	;; [unrolled: 1-line block ×3, first 2 shown]
	s_waitcnt lgkmcnt(0)
	v_cmp_lt_u64_e64 s[0:1], s[14:15], 2
	v_mov_b32_e32 v4, 0
	v_mov_b32_e32 v77, v4
	;; [unrolled: 1-line block ×3, first 2 shown]
	s_and_b64 vcc, exec, s[0:1]
	v_mov_b32_e32 v76, v3
	v_mov_b32_e32 v78, v1
	s_cbranch_vccnz .LBB0_8
; %bb.1:
	s_load_dwordx2 s[0:1], s[4:5], 0x10
	s_add_u32 s2, s18, 8
	s_addc_u32 s3, s19, 0
	s_add_u32 s6, s16, 8
	v_mov_b32_e32 v3, 0
	s_addc_u32 s7, s17, 0
	v_mov_b32_e32 v4, 0
	s_waitcnt lgkmcnt(0)
	s_add_u32 s20, s0, 8
	v_mov_b32_e32 v77, v4
	v_mov_b32_e32 v8, v2
	s_addc_u32 s21, s1, 0
	s_mov_b64 s[22:23], 1
	v_mov_b32_e32 v76, v3
	v_mov_b32_e32 v7, v1
.LBB0_2:                                ; =>This Inner Loop Header: Depth=1
	s_load_dwordx2 s[24:25], s[20:21], 0x0
                                        ; implicit-def: $vgpr78_vgpr79
	s_waitcnt lgkmcnt(0)
	v_or_b32_e32 v6, s25, v8
	v_cmp_ne_u64_e32 vcc, 0, v[5:6]
	s_and_saveexec_b64 s[0:1], vcc
	s_xor_b64 s[26:27], exec, s[0:1]
	s_cbranch_execz .LBB0_4
; %bb.3:                                ;   in Loop: Header=BB0_2 Depth=1
	v_cvt_f32_u32_e32 v2, s24
	v_cvt_f32_u32_e32 v6, s25
	s_sub_u32 s0, 0, s24
	s_subb_u32 s1, 0, s25
	v_mac_f32_e32 v2, 0x4f800000, v6
	v_rcp_f32_e32 v2, v2
	v_mul_f32_e32 v2, 0x5f7ffffc, v2
	v_mul_f32_e32 v6, 0x2f800000, v2
	v_trunc_f32_e32 v6, v6
	v_mac_f32_e32 v2, 0xcf800000, v6
	v_cvt_u32_f32_e32 v6, v6
	v_cvt_u32_f32_e32 v2, v2
	v_mul_lo_u32 v9, s0, v6
	v_mul_hi_u32 v10, s0, v2
	v_mul_lo_u32 v12, s1, v2
	v_mul_lo_u32 v11, s0, v2
	v_add_u32_e32 v9, v10, v9
	v_add_u32_e32 v9, v9, v12
	v_mul_hi_u32 v10, v2, v11
	v_mul_lo_u32 v12, v2, v9
	v_mul_hi_u32 v14, v2, v9
	v_mul_hi_u32 v13, v6, v11
	v_mul_lo_u32 v11, v6, v11
	v_mul_hi_u32 v15, v6, v9
	v_add_co_u32_e32 v10, vcc, v10, v12
	v_addc_co_u32_e32 v12, vcc, 0, v14, vcc
	v_mul_lo_u32 v9, v6, v9
	v_add_co_u32_e32 v10, vcc, v10, v11
	v_addc_co_u32_e32 v10, vcc, v12, v13, vcc
	v_addc_co_u32_e32 v11, vcc, 0, v15, vcc
	v_add_co_u32_e32 v9, vcc, v10, v9
	v_addc_co_u32_e32 v10, vcc, 0, v11, vcc
	v_add_co_u32_e32 v2, vcc, v2, v9
	v_addc_co_u32_e32 v6, vcc, v6, v10, vcc
	v_mul_lo_u32 v9, s0, v6
	v_mul_hi_u32 v10, s0, v2
	v_mul_lo_u32 v11, s1, v2
	v_mul_lo_u32 v12, s0, v2
	v_add_u32_e32 v9, v10, v9
	v_add_u32_e32 v9, v9, v11
	v_mul_lo_u32 v13, v2, v9
	v_mul_hi_u32 v14, v2, v12
	v_mul_hi_u32 v15, v2, v9
	;; [unrolled: 1-line block ×3, first 2 shown]
	v_mul_lo_u32 v12, v6, v12
	v_mul_hi_u32 v10, v6, v9
	v_add_co_u32_e32 v13, vcc, v14, v13
	v_addc_co_u32_e32 v14, vcc, 0, v15, vcc
	v_mul_lo_u32 v9, v6, v9
	v_add_co_u32_e32 v12, vcc, v13, v12
	v_addc_co_u32_e32 v11, vcc, v14, v11, vcc
	v_addc_co_u32_e32 v10, vcc, 0, v10, vcc
	v_add_co_u32_e32 v9, vcc, v11, v9
	v_addc_co_u32_e32 v10, vcc, 0, v10, vcc
	v_add_co_u32_e32 v2, vcc, v2, v9
	v_addc_co_u32_e32 v6, vcc, v6, v10, vcc
	v_mad_u64_u32 v[9:10], s[0:1], v7, v6, 0
	v_mul_hi_u32 v11, v7, v2
	v_add_co_u32_e32 v13, vcc, v11, v9
	v_addc_co_u32_e32 v14, vcc, 0, v10, vcc
	v_mad_u64_u32 v[9:10], s[0:1], v8, v2, 0
	v_mad_u64_u32 v[11:12], s[0:1], v8, v6, 0
	v_add_co_u32_e32 v2, vcc, v13, v9
	v_addc_co_u32_e32 v2, vcc, v14, v10, vcc
	v_addc_co_u32_e32 v6, vcc, 0, v12, vcc
	v_add_co_u32_e32 v2, vcc, v2, v11
	v_addc_co_u32_e32 v6, vcc, 0, v6, vcc
	v_mul_lo_u32 v11, s25, v2
	v_mul_lo_u32 v12, s24, v6
	v_mad_u64_u32 v[9:10], s[0:1], s24, v2, 0
	v_add3_u32 v10, v10, v12, v11
	v_sub_u32_e32 v11, v8, v10
	v_mov_b32_e32 v12, s25
	v_sub_co_u32_e32 v9, vcc, v7, v9
	v_subb_co_u32_e64 v11, s[0:1], v11, v12, vcc
	v_subrev_co_u32_e64 v12, s[0:1], s24, v9
	v_subbrev_co_u32_e64 v11, s[0:1], 0, v11, s[0:1]
	v_cmp_le_u32_e64 s[0:1], s25, v11
	v_cndmask_b32_e64 v13, 0, -1, s[0:1]
	v_cmp_le_u32_e64 s[0:1], s24, v12
	v_cndmask_b32_e64 v12, 0, -1, s[0:1]
	v_cmp_eq_u32_e64 s[0:1], s25, v11
	v_cndmask_b32_e64 v11, v13, v12, s[0:1]
	v_add_co_u32_e64 v12, s[0:1], 2, v2
	v_addc_co_u32_e64 v13, s[0:1], 0, v6, s[0:1]
	v_add_co_u32_e64 v14, s[0:1], 1, v2
	v_addc_co_u32_e64 v15, s[0:1], 0, v6, s[0:1]
	v_subb_co_u32_e32 v10, vcc, v8, v10, vcc
	v_cmp_ne_u32_e64 s[0:1], 0, v11
	v_cmp_le_u32_e32 vcc, s25, v10
	v_cndmask_b32_e64 v11, v15, v13, s[0:1]
	v_cndmask_b32_e64 v13, 0, -1, vcc
	v_cmp_le_u32_e32 vcc, s24, v9
	v_cndmask_b32_e64 v9, 0, -1, vcc
	v_cmp_eq_u32_e32 vcc, s25, v10
	v_cndmask_b32_e32 v9, v13, v9, vcc
	v_cmp_ne_u32_e32 vcc, 0, v9
	v_cndmask_b32_e32 v79, v6, v11, vcc
	v_cndmask_b32_e64 v6, v14, v12, s[0:1]
	v_cndmask_b32_e32 v78, v2, v6, vcc
.LBB0_4:                                ;   in Loop: Header=BB0_2 Depth=1
	s_andn2_saveexec_b64 s[0:1], s[26:27]
	s_cbranch_execz .LBB0_6
; %bb.5:                                ;   in Loop: Header=BB0_2 Depth=1
	v_cvt_f32_u32_e32 v2, s24
	s_sub_i32 s26, 0, s24
	v_mov_b32_e32 v79, v5
	v_rcp_iflag_f32_e32 v2, v2
	v_mul_f32_e32 v2, 0x4f7ffffe, v2
	v_cvt_u32_f32_e32 v2, v2
	v_mul_lo_u32 v6, s26, v2
	v_mul_hi_u32 v6, v2, v6
	v_add_u32_e32 v2, v2, v6
	v_mul_hi_u32 v2, v7, v2
	v_mul_lo_u32 v6, v2, s24
	v_add_u32_e32 v9, 1, v2
	v_sub_u32_e32 v6, v7, v6
	v_subrev_u32_e32 v10, s24, v6
	v_cmp_le_u32_e32 vcc, s24, v6
	v_cndmask_b32_e32 v6, v6, v10, vcc
	v_cndmask_b32_e32 v2, v2, v9, vcc
	v_add_u32_e32 v9, 1, v2
	v_cmp_le_u32_e32 vcc, s24, v6
	v_cndmask_b32_e32 v78, v2, v9, vcc
.LBB0_6:                                ;   in Loop: Header=BB0_2 Depth=1
	s_or_b64 exec, exec, s[0:1]
	v_mul_lo_u32 v2, v79, s24
	v_mul_lo_u32 v6, v78, s25
	v_mad_u64_u32 v[9:10], s[0:1], v78, s24, 0
	s_load_dwordx2 s[0:1], s[6:7], 0x0
	s_load_dwordx2 s[24:25], s[2:3], 0x0
	v_add3_u32 v2, v10, v6, v2
	v_sub_co_u32_e32 v6, vcc, v7, v9
	v_subb_co_u32_e32 v2, vcc, v8, v2, vcc
	s_waitcnt lgkmcnt(0)
	v_mul_lo_u32 v7, s0, v2
	v_mul_lo_u32 v8, s1, v6
	v_mad_u64_u32 v[3:4], s[0:1], s0, v6, v[3:4]
	s_add_u32 s22, s22, 1
	s_addc_u32 s23, s23, 0
	s_add_u32 s2, s2, 8
	v_mul_lo_u32 v2, s24, v2
	v_mul_lo_u32 v9, s25, v6
	v_mad_u64_u32 v[76:77], s[0:1], s24, v6, v[76:77]
	v_add3_u32 v4, v8, v4, v7
	s_addc_u32 s3, s3, 0
	v_mov_b32_e32 v6, s14
	s_add_u32 s6, s6, 8
	v_mov_b32_e32 v7, s15
	s_addc_u32 s7, s7, 0
	v_cmp_ge_u64_e32 vcc, s[22:23], v[6:7]
	s_add_u32 s20, s20, 8
	v_add3_u32 v77, v9, v77, v2
	s_addc_u32 s21, s21, 0
	s_cbranch_vccnz .LBB0_8
; %bb.7:                                ;   in Loop: Header=BB0_2 Depth=1
	v_mov_b32_e32 v7, v78
	v_mov_b32_e32 v8, v79
	s_branch .LBB0_2
.LBB0_8:
	s_load_dwordx2 s[4:5], s[4:5], 0x28
	s_lshl_b64 s[6:7], s[14:15], 3
	s_add_u32 s2, s18, s6
	s_addc_u32 s3, s19, s7
                                        ; implicit-def: $sgpr14_sgpr15
                                        ; implicit-def: $vgpr82
	s_waitcnt lgkmcnt(0)
	v_cmp_gt_u64_e64 s[0:1], s[4:5], v[78:79]
	v_cmp_le_u64_e32 vcc, s[4:5], v[78:79]
	s_and_saveexec_b64 s[4:5], vcc
	s_xor_b64 s[4:5], exec, s[4:5]
; %bb.9:
	s_mov_b32 s14, 0x3f03f04
	v_mul_hi_u32 v2, v0, s14
	s_mov_b64 s[14:15], 0
                                        ; implicit-def: $vgpr3_vgpr4
	v_mul_u32_u24_e32 v2, 0x41, v2
	v_sub_u32_e32 v82, v0, v2
                                        ; implicit-def: $vgpr0
; %bb.10:
	s_or_saveexec_b64 s[4:5], s[4:5]
	v_mov_b32_e32 v81, s15
	v_mov_b32_e32 v80, s14
                                        ; implicit-def: $vgpr62_vgpr63
                                        ; implicit-def: $vgpr58_vgpr59
                                        ; implicit-def: $vgpr50_vgpr51
                                        ; implicit-def: $vgpr26_vgpr27
                                        ; implicit-def: $vgpr22_vgpr23
                                        ; implicit-def: $vgpr14_vgpr15
                                        ; implicit-def: $vgpr10_vgpr11
                                        ; implicit-def: $vgpr6_vgpr7
                                        ; implicit-def: $vgpr18_vgpr19
                                        ; implicit-def: $vgpr30_vgpr31
                                        ; implicit-def: $vgpr38_vgpr39
                                        ; implicit-def: $vgpr46_vgpr47
                                        ; implicit-def: $vgpr42_vgpr43
	s_xor_b64 exec, exec, s[4:5]
	s_cbranch_execz .LBB0_12
; %bb.11:
	s_add_u32 s6, s16, s6
	s_addc_u32 s7, s17, s7
	s_load_dwordx2 s[6:7], s[6:7], 0x0
	s_mov_b32 s14, 0x3f03f04
	v_mul_hi_u32 v2, v0, s14
	v_mov_b32_e32 v83, 0
	s_waitcnt lgkmcnt(0)
	v_mul_lo_u32 v7, s7, v78
	v_mul_lo_u32 v8, s6, v79
	v_mad_u64_u32 v[5:6], s[6:7], s6, v78, 0
	v_mul_u32_u24_e32 v2, 0x41, v2
	v_sub_u32_e32 v82, v0, v2
	v_add3_u32 v6, v6, v8, v7
	v_lshlrev_b64 v[5:6], 4, v[5:6]
	v_mov_b32_e32 v0, s9
	v_add_co_u32_e32 v5, vcc, s8, v5
	v_lshlrev_b64 v[2:3], 4, v[3:4]
	v_addc_co_u32_e32 v0, vcc, v0, v6, vcc
	v_add_co_u32_e32 v2, vcc, v5, v2
	v_addc_co_u32_e32 v0, vcc, v0, v3, vcc
	v_lshlrev_b32_e32 v3, 4, v82
	v_add_co_u32_e32 v2, vcc, v2, v3
	v_addc_co_u32_e32 v3, vcc, 0, v0, vcc
	s_movk_i32 s6, 0x1000
	v_add_co_u32_e32 v32, vcc, s6, v2
	v_addc_co_u32_e32 v33, vcc, 0, v3, vcc
	s_movk_i32 s6, 0x2000
	v_add_co_u32_e32 v34, vcc, s6, v2
	v_addc_co_u32_e32 v35, vcc, 0, v3, vcc
	global_load_dwordx4 v[40:43], v[2:3], off
	global_load_dwordx4 v[44:47], v[2:3], off offset:1040
	global_load_dwordx4 v[36:39], v[2:3], off offset:2080
	;; [unrolled: 1-line block ×3, first 2 shown]
	v_add_co_u32_e32 v2, vcc, 0x3000, v2
	global_load_dwordx4 v[16:19], v[32:33], off offset:64
	global_load_dwordx4 v[4:7], v[32:33], off offset:1104
	v_addc_co_u32_e32 v3, vcc, 0, v3, vcc
	global_load_dwordx4 v[8:11], v[32:33], off offset:2144
	global_load_dwordx4 v[12:15], v[32:33], off offset:3184
	;; [unrolled: 1-line block ×7, first 2 shown]
	v_mov_b32_e32 v80, v82
	v_mov_b32_e32 v81, v83
.LBB0_12:
	s_or_b64 exec, exec, s[4:5]
	s_waitcnt vmcnt(11)
	v_add_f64 v[2:3], v[44:45], v[40:41]
	s_mov_b32 s28, 0xaaaaaaab
	s_waitcnt vmcnt(0)
	v_add_f64 v[34:35], v[46:47], -v[62:63]
	v_mul_hi_u32 v0, v1, s28
	s_mov_b32 s40, 0x4267c47c
	s_mov_b32 s41, 0xbfddbe06
	v_add_f64 v[32:33], v[60:61], v[44:45]
	v_lshrrev_b32_e32 v0, 1, v0
	v_add_f64 v[2:3], v[36:37], v[2:3]
	v_lshl_add_u32 v0, v0, 1, v0
	v_sub_u32_e32 v0, v1, v0
	v_add_f64 v[54:55], v[38:39], -v[58:59]
	v_mul_u32_u24_e32 v89, 0x34d, v0
	v_mul_f64 v[0:1], v[34:35], s[40:41]
	s_mov_b32 s6, 0xe00740e9
	s_mov_b32 s22, 0x42a4c3d2
	v_add_f64 v[2:3], v[28:29], v[2:3]
	s_mov_b32 s30, 0x66966769
	s_mov_b32 s14, 0x2ef20147
	;; [unrolled: 1-line block ×7, first 2 shown]
	v_add_f64 v[2:3], v[16:17], v[2:3]
	s_mov_b32 s15, 0xbfedeba7
	s_mov_b32 s21, 0xbfe5384d
	;; [unrolled: 1-line block ×3, first 2 shown]
	v_add_f64 v[52:53], v[56:57], v[36:37]
	v_mul_f64 v[64:65], v[34:35], s[22:23]
	v_mul_f64 v[66:67], v[34:35], s[30:31]
	;; [unrolled: 1-line block ×3, first 2 shown]
	v_add_f64 v[2:3], v[4:5], v[2:3]
	v_mul_f64 v[70:71], v[34:35], s[20:21]
	v_mul_f64 v[34:35], v[34:35], s[26:27]
	;; [unrolled: 1-line block ×3, first 2 shown]
	v_fma_f64 v[85:86], v[32:33], s[6:7], v[0:1]
	v_fma_f64 v[0:1], v[32:33], s[6:7], -v[0:1]
	s_mov_b32 s8, 0x1ea71119
	s_mov_b32 s4, 0xebaa3ed8
	v_add_f64 v[2:3], v[8:9], v[2:3]
	s_mov_b32 s16, 0xb2365da1
	s_mov_b32 s18, 0xd0032e0c
	;; [unrolled: 1-line block ×7, first 2 shown]
	v_add_f64 v[2:3], v[12:13], v[2:3]
	s_mov_b32 s25, 0xbfef11f4
	v_mul_f64 v[74:75], v[54:55], s[14:15]
	v_mul_f64 v[83:84], v[54:55], s[26:27]
	v_fma_f64 v[87:88], v[32:33], s[8:9], v[64:65]
	v_fma_f64 v[64:65], v[32:33], s[8:9], -v[64:65]
	v_fma_f64 v[90:91], v[32:33], s[4:5], v[66:67]
	v_fma_f64 v[66:67], v[32:33], s[4:5], -v[66:67]
	v_add_f64 v[2:3], v[20:21], v[2:3]
	v_fma_f64 v[92:93], v[32:33], s[16:17], v[68:69]
	v_fma_f64 v[68:69], v[32:33], s[16:17], -v[68:69]
	v_fma_f64 v[94:95], v[32:33], s[18:19], v[70:71]
	v_fma_f64 v[70:71], v[32:33], s[18:19], -v[70:71]
	;; [unrolled: 2-line block ×3, first 2 shown]
	v_fma_f64 v[34:35], v[52:53], s[8:9], v[72:73]
	v_add_f64 v[2:3], v[24:25], v[2:3]
	v_fma_f64 v[72:73], v[52:53], s[8:9], -v[72:73]
	v_add_f64 v[0:1], v[40:41], v[0:1]
	s_mov_b32 s37, 0x3fe5384d
	s_mov_b32 s36, s20
	;; [unrolled: 1-line block ×4, first 2 shown]
	v_fma_f64 v[98:99], v[52:53], s[16:17], v[74:75]
	v_add_f64 v[2:3], v[48:49], v[2:3]
	v_fma_f64 v[74:75], v[52:53], s[16:17], -v[74:75]
	v_fma_f64 v[100:101], v[52:53], s[24:25], v[83:84]
	v_add_f64 v[85:86], v[40:41], v[85:86]
	v_add_f64 v[87:88], v[40:41], v[87:88]
	;; [unrolled: 1-line block ×14, first 2 shown]
	v_mul_f64 v[2:3], v[54:55], s[36:37]
	v_mul_f64 v[72:73], v[54:55], s[28:29]
	s_mov_b32 s35, 0x3fddbe06
	s_mov_b32 s34, s40
	v_add_f64 v[34:35], v[34:35], v[85:86]
	v_add_f64 v[85:86], v[98:99], v[87:88]
	;; [unrolled: 1-line block ×4, first 2 shown]
	v_fma_f64 v[83:84], v[52:53], s[24:25], -v[83:84]
	v_fma_f64 v[87:88], v[52:53], s[18:19], v[2:3]
	v_add_f64 v[90:91], v[30:31], -v[50:51]
	v_fma_f64 v[98:99], v[52:53], s[4:5], v[72:73]
	v_fma_f64 v[72:73], v[52:53], s[4:5], -v[72:73]
	v_mul_f64 v[54:55], v[54:55], s[34:35]
	v_fma_f64 v[2:3], v[52:53], s[18:19], -v[2:3]
	v_add_f64 v[100:101], v[48:49], v[28:29]
	v_add_f64 v[66:67], v[83:84], v[66:67]
	;; [unrolled: 1-line block ×3, first 2 shown]
	v_mul_f64 v[102:103], v[90:91], s[30:31]
	v_mul_f64 v[87:88], v[90:91], s[26:27]
	v_add_f64 v[70:71], v[72:73], v[70:71]
	v_fma_f64 v[72:73], v[52:53], s[6:7], v[54:55]
	v_fma_f64 v[52:53], v[52:53], s[6:7], -v[54:55]
	s_mov_b32 s45, 0x3fedeba7
	s_mov_b32 s44, s14
	v_add_f64 v[2:3], v[2:3], v[68:69]
	v_add_f64 v[68:69], v[98:99], v[94:95]
	v_fma_f64 v[54:55], v[100:101], s[4:5], v[102:103]
	v_fma_f64 v[92:93], v[100:101], s[4:5], -v[102:103]
	v_mul_f64 v[94:95], v[90:91], s[44:45]
	v_add_f64 v[72:73], v[72:73], v[96:97]
	v_add_f64 v[32:33], v[52:53], v[32:33]
	v_mul_f64 v[52:53], v[90:91], s[34:35]
	v_fma_f64 v[96:97], v[100:101], s[24:25], v[87:88]
	v_fma_f64 v[87:88], v[100:101], s[24:25], -v[87:88]
	v_add_f64 v[34:35], v[54:55], v[34:35]
	v_add_f64 v[0:1], v[92:93], v[0:1]
	v_fma_f64 v[54:55], v[100:101], s[16:17], v[94:95]
	v_fma_f64 v[92:93], v[100:101], s[16:17], -v[94:95]
	v_mul_f64 v[94:95], v[90:91], s[22:23]
	v_fma_f64 v[98:99], v[100:101], s[6:7], v[52:53]
	v_fma_f64 v[52:53], v[100:101], s[6:7], -v[52:53]
	v_add_f64 v[64:65], v[87:88], v[64:65]
	v_add_f64 v[87:88], v[18:19], -v[26:27]
	v_mul_f64 v[90:91], v[90:91], s[20:21]
	v_add_f64 v[85:86], v[96:97], v[85:86]
	v_add_f64 v[54:55], v[54:55], v[74:75]
	;; [unrolled: 1-line block ×3, first 2 shown]
	v_fma_f64 v[74:75], v[100:101], s[8:9], v[94:95]
	v_add_f64 v[92:93], v[24:25], v[16:17]
	v_add_f64 v[2:3], v[52:53], v[2:3]
	v_mul_f64 v[96:97], v[87:88], s[14:15]
	v_fma_f64 v[52:53], v[100:101], s[8:9], -v[94:95]
	v_mul_f64 v[94:95], v[87:88], s[36:37]
	v_add_f64 v[83:84], v[98:99], v[83:84]
	v_fma_f64 v[98:99], v[100:101], s[18:19], v[90:91]
	v_fma_f64 v[90:91], v[100:101], s[18:19], -v[90:91]
	v_add_f64 v[68:69], v[74:75], v[68:69]
	v_mul_f64 v[74:75], v[87:88], s[34:35]
	v_fma_f64 v[100:101], v[92:93], s[16:17], v[96:97]
	v_fma_f64 v[96:97], v[92:93], s[16:17], -v[96:97]
	v_add_f64 v[52:53], v[52:53], v[70:71]
	v_fma_f64 v[70:71], v[92:93], s[18:19], v[94:95]
	v_fma_f64 v[94:95], v[92:93], s[18:19], -v[94:95]
	v_add_f64 v[32:33], v[90:91], v[32:33]
	v_mul_f64 v[90:91], v[87:88], s[30:31]
	s_mov_b32 s43, 0x3fcea1e5
	s_mov_b32 s42, s26
	v_fma_f64 v[102:103], v[92:93], s[6:7], v[74:75]
	v_add_f64 v[0:1], v[96:97], v[0:1]
	v_add_f64 v[70:71], v[70:71], v[85:86]
	v_fma_f64 v[74:75], v[92:93], s[6:7], -v[74:75]
	v_mul_f64 v[85:86], v[87:88], s[42:43]
	v_add_f64 v[96:97], v[6:7], -v[22:23]
	s_mov_b32 s39, 0x3fea55e2
	s_mov_b32 s38, s22
	v_add_f64 v[64:65], v[94:95], v[64:65]
	v_fma_f64 v[94:95], v[92:93], s[4:5], v[90:91]
	v_fma_f64 v[90:91], v[92:93], s[4:5], -v[90:91]
	v_mul_f64 v[87:88], v[87:88], s[38:39]
	v_add_f64 v[72:73], v[98:99], v[72:73]
	v_add_f64 v[34:35], v[100:101], v[34:35]
	;; [unrolled: 1-line block ×3, first 2 shown]
	v_fma_f64 v[74:75], v[92:93], s[24:25], v[85:86]
	v_add_f64 v[98:99], v[20:21], v[4:5]
	v_mul_f64 v[100:101], v[96:97], s[20:21]
	v_add_f64 v[83:84], v[94:95], v[83:84]
	v_fma_f64 v[85:86], v[92:93], s[24:25], -v[85:86]
	v_add_f64 v[2:3], v[90:91], v[2:3]
	v_fma_f64 v[90:91], v[92:93], s[8:9], v[87:88]
	v_mul_f64 v[94:95], v[96:97], s[28:29]
	v_fma_f64 v[87:88], v[92:93], s[8:9], -v[87:88]
	v_add_f64 v[68:69], v[74:75], v[68:69]
	v_fma_f64 v[74:75], v[98:99], s[18:19], v[100:101]
	v_mul_f64 v[92:93], v[96:97], s[22:23]
	v_add_f64 v[52:53], v[85:86], v[52:53]
	v_fma_f64 v[85:86], v[98:99], s[18:19], -v[100:101]
	v_add_f64 v[72:73], v[90:91], v[72:73]
	v_fma_f64 v[90:91], v[98:99], s[4:5], v[94:95]
	v_add_f64 v[32:33], v[87:88], v[32:33]
	v_fma_f64 v[87:88], v[98:99], s[4:5], -v[94:95]
	v_add_f64 v[54:55], v[102:103], v[54:55]
	v_add_f64 v[34:35], v[74:75], v[34:35]
	v_fma_f64 v[74:75], v[98:99], s[8:9], v[92:93]
	v_mul_f64 v[94:95], v[96:97], s[42:43]
	v_add_f64 v[0:1], v[85:86], v[0:1]
	v_fma_f64 v[85:86], v[98:99], s[8:9], -v[92:93]
	v_add_f64 v[70:71], v[90:91], v[70:71]
	v_mul_f64 v[90:91], v[96:97], s[34:35]
	v_add_f64 v[64:65], v[87:88], v[64:65]
	v_add_f64 v[87:88], v[10:11], -v[14:15]
	v_add_f64 v[54:55], v[74:75], v[54:55]
	v_fma_f64 v[74:75], v[98:99], s[24:25], v[94:95]
	v_mul_f64 v[92:93], v[96:97], s[14:15]
	v_add_f64 v[66:67], v[85:86], v[66:67]
	v_fma_f64 v[85:86], v[98:99], s[24:25], -v[94:95]
	v_fma_f64 v[94:95], v[98:99], s[6:7], v[90:91]
	v_add_f64 v[96:97], v[12:13], v[8:9]
	v_mul_f64 v[100:101], v[87:88], s[26:27]
	v_fma_f64 v[90:91], v[98:99], s[6:7], -v[90:91]
	v_add_f64 v[74:75], v[74:75], v[83:84]
	v_fma_f64 v[83:84], v[98:99], s[16:17], v[92:93]
	v_fma_f64 v[92:93], v[98:99], s[16:17], -v[92:93]
	v_mul_f64 v[98:99], v[87:88], s[34:35]
	v_add_f64 v[85:86], v[85:86], v[2:3]
	v_add_f64 v[68:69], v[94:95], v[68:69]
	v_fma_f64 v[2:3], v[96:97], s[24:25], v[100:101]
	v_add_f64 v[52:53], v[90:91], v[52:53]
	v_fma_f64 v[90:91], v[96:97], s[24:25], -v[100:101]
	v_add_f64 v[72:73], v[83:84], v[72:73]
	v_add_f64 v[83:84], v[92:93], v[32:33]
	v_fma_f64 v[92:93], v[96:97], s[6:7], v[98:99]
	v_fma_f64 v[94:95], v[96:97], s[6:7], -v[98:99]
	v_mul_f64 v[98:99], v[87:88], s[20:21]
	v_mul_f64 v[100:101], v[87:88], s[38:39]
	v_add_f64 v[34:35], v[2:3], v[34:35]
	v_add_f64 v[32:33], v[90:91], v[0:1]
	v_mul_f64 v[0:1], v[87:88], s[14:15]
	v_mul_f64 v[87:88], v[87:88], s[28:29]
	v_add_f64 v[70:71], v[92:93], v[70:71]
	v_add_f64 v[2:3], v[94:95], v[64:65]
	v_fma_f64 v[64:65], v[96:97], s[18:19], v[98:99]
	v_fma_f64 v[90:91], v[96:97], s[18:19], -v[98:99]
	v_fma_f64 v[92:93], v[96:97], s[8:9], v[100:101]
	v_fma_f64 v[94:95], v[96:97], s[8:9], -v[100:101]
	v_fma_f64 v[98:99], v[96:97], s[16:17], v[0:1]
	v_fma_f64 v[100:101], v[96:97], s[4:5], v[87:88]
	v_fma_f64 v[87:88], v[96:97], s[4:5], -v[87:88]
	v_fma_f64 v[96:97], v[96:97], s[16:17], -v[0:1]
	v_add_f64 v[54:55], v[64:65], v[54:55]
	v_add_f64 v[0:1], v[90:91], v[66:67]
	;; [unrolled: 1-line block ×8, first 2 shown]
	v_lshl_add_u32 v83, v89, 3, 0
	s_movk_i32 s33, 0x68
	v_mad_u32_u24 v92, v82, s33, v83
	s_movk_i32 s33, 0xffa0
	v_mad_i32_i24 v91, v82, s33, v92
	v_add_u32_e32 v93, 0x400, v91
	v_add_u32_e32 v94, 0x800, v91
	v_add_u32_e32 v95, 0x1000, v91
	s_load_dwordx2 s[2:3], s[2:3], 0x0
	ds_write2_b64 v92, v[40:41], v[34:35] offset1:1
	ds_write2_b64 v92, v[70:71], v[54:55] offset0:2 offset1:3
	ds_write2_b64 v92, v[64:65], v[68:69] offset0:4 offset1:5
	;; [unrolled: 1-line block ×5, first 2 shown]
	ds_write_b64 v92, v[32:33] offset:96
	s_waitcnt lgkmcnt(0)
	s_barrier
	v_lshl_add_u32 v90, v82, 3, v83
	ds_read2_b64 v[52:55], v91 offset0:65 offset1:169
	ds_read2_b64 v[64:67], v93 offset0:106 offset1:210
	;; [unrolled: 1-line block ×4, first 2 shown]
	ds_read_b64 v[40:41], v90
	ds_read_b64 v[83:84], v91 offset:5928
	v_cmp_gt_u32_e32 vcc, 39, v82
                                        ; implicit-def: $vgpr85_vgpr86
	s_and_saveexec_b64 s[46:47], vcc
	s_cbranch_execz .LBB0_14
; %bb.13:
	v_add_u32_e32 v32, 0xc00, v91
	ds_read2_b64 v[0:3], v93 offset0:2 offset1:171
	ds_read2_b64 v[32:35], v32 offset0:84 offset1:253
	ds_read_b64 v[85:86], v91 offset:6448
.LBB0_14:
	s_or_b64 exec, exec, s[46:47]
	v_add_f64 v[87:88], v[46:47], v[42:43]
	v_add_f64 v[44:45], v[44:45], -v[60:61]
	v_add_f64 v[46:47], v[62:63], v[46:47]
	v_add_f64 v[36:37], v[36:37], -v[56:57]
	v_add_f64 v[28:29], v[28:29], -v[48:49]
	;; [unrolled: 1-line block ×5, first 2 shown]
	v_add_f64 v[87:88], v[38:39], v[87:88]
	v_mul_f64 v[60:61], v[44:45], s[40:41]
	v_mul_f64 v[96:97], v[44:45], s[22:23]
	;; [unrolled: 1-line block ×6, first 2 shown]
	v_add_f64 v[38:39], v[58:59], v[38:39]
	v_add_f64 v[87:88], v[30:31], v[87:88]
	v_mul_f64 v[56:57], v[36:37], s[14:15]
	v_fma_f64 v[98:99], v[46:47], s[8:9], -v[96:97]
	v_fma_f64 v[96:97], v[46:47], s[8:9], v[96:97]
	v_fma_f64 v[102:103], v[46:47], s[4:5], -v[100:101]
	v_fma_f64 v[100:101], v[46:47], s[4:5], v[100:101]
	;; [unrolled: 2-line block ×3, first 2 shown]
	v_add_f64 v[87:88], v[18:19], v[87:88]
	v_fma_f64 v[110:111], v[46:47], s[18:19], -v[108:109]
	v_fma_f64 v[108:109], v[46:47], s[18:19], v[108:109]
	v_fma_f64 v[112:113], v[46:47], s[24:25], -v[44:45]
	v_fma_f64 v[44:45], v[46:47], s[24:25], v[44:45]
	v_add_f64 v[98:99], v[42:43], v[98:99]
	v_add_f64 v[96:97], v[42:43], v[96:97]
	;; [unrolled: 1-line block ×12, first 2 shown]
	v_mul_f64 v[48:49], v[28:29], s[44:45]
	v_add_f64 v[18:19], v[26:27], v[18:19]
	v_mul_f64 v[24:25], v[16:17], s[14:15]
	v_add_f64 v[6:7], v[22:23], v[6:7]
	v_add_f64 v[10:11], v[14:15], v[10:11]
	s_waitcnt lgkmcnt(0)
	s_barrier
	v_add_f64 v[87:88], v[14:15], v[87:88]
	v_add_f64 v[87:88], v[22:23], v[87:88]
	v_mul_f64 v[22:23], v[4:5], s[28:29]
	v_add_f64 v[87:88], v[26:27], v[87:88]
	v_fma_f64 v[26:27], v[18:19], s[16:17], -v[24:25]
	v_fma_f64 v[24:25], v[18:19], s[16:17], v[24:25]
	v_add_f64 v[87:88], v[50:51], v[87:88]
	v_fma_f64 v[50:51], v[30:31], s[16:17], -v[48:49]
	v_fma_f64 v[48:49], v[30:31], s[16:17], v[48:49]
	;; [unrolled: 3-line block ×4, first 2 shown]
	v_add_f64 v[56:57], v[56:57], v[96:97]
	v_mul_f64 v[96:97], v[36:37], s[36:37]
	v_add_f64 v[58:59], v[58:59], v[98:99]
	v_add_f64 v[62:63], v[42:43], v[62:63]
	;; [unrolled: 1-line block ×4, first 2 shown]
	v_mul_f64 v[44:45], v[36:37], s[22:23]
	v_fma_f64 v[98:99], v[38:39], s[18:19], -v[96:97]
	v_fma_f64 v[96:97], v[38:39], s[18:19], v[96:97]
	v_fma_f64 v[46:47], v[38:39], s[8:9], -v[44:45]
	v_fma_f64 v[44:45], v[38:39], s[8:9], v[44:45]
	v_add_f64 v[96:97], v[96:97], v[104:105]
	v_add_f64 v[98:99], v[98:99], v[106:107]
	;; [unrolled: 1-line block ×4, first 2 shown]
	v_mul_f64 v[60:61], v[36:37], s[26:27]
	v_fma_f64 v[62:63], v[38:39], s[24:25], -v[60:61]
	v_fma_f64 v[60:61], v[38:39], s[24:25], v[60:61]
	v_add_f64 v[62:63], v[62:63], v[102:103]
	v_add_f64 v[60:61], v[60:61], v[100:101]
	v_mul_f64 v[100:101], v[36:37], s[28:29]
	v_mul_f64 v[36:37], v[36:37], s[34:35]
	v_add_f64 v[50:51], v[50:51], v[62:63]
	v_add_f64 v[48:49], v[48:49], v[60:61]
	v_fma_f64 v[102:103], v[38:39], s[4:5], -v[100:101]
	v_fma_f64 v[100:101], v[38:39], s[4:5], v[100:101]
	v_fma_f64 v[104:105], v[38:39], s[6:7], -v[36:37]
	v_fma_f64 v[36:37], v[38:39], s[6:7], v[36:37]
	v_mul_f64 v[38:39], v[28:29], s[30:31]
	v_mul_f64 v[60:61], v[28:29], s[22:23]
	v_add_f64 v[102:103], v[102:103], v[110:111]
	v_add_f64 v[100:101], v[100:101], v[108:109]
	;; [unrolled: 1-line block ×4, first 2 shown]
	v_fma_f64 v[42:43], v[30:31], s[4:5], -v[38:39]
	v_fma_f64 v[38:39], v[30:31], s[4:5], v[38:39]
	v_fma_f64 v[62:63], v[30:31], s[8:9], -v[60:61]
	v_fma_f64 v[60:61], v[30:31], s[8:9], v[60:61]
	v_add_f64 v[42:43], v[42:43], v[46:47]
	v_add_f64 v[38:39], v[38:39], v[44:45]
	v_mul_f64 v[44:45], v[28:29], s[26:27]
	v_add_f64 v[62:63], v[62:63], v[102:103]
	v_add_f64 v[60:61], v[60:61], v[100:101]
	;; [unrolled: 1-line block ×4, first 2 shown]
	v_fma_f64 v[46:47], v[30:31], s[24:25], -v[44:45]
	v_fma_f64 v[44:45], v[30:31], s[24:25], v[44:45]
	v_mul_f64 v[38:39], v[16:17], s[34:35]
	v_add_f64 v[46:47], v[46:47], v[58:59]
	v_add_f64 v[44:45], v[44:45], v[56:57]
	v_mul_f64 v[56:57], v[28:29], s[34:35]
	v_mul_f64 v[28:29], v[28:29], s[20:21]
	v_fma_f64 v[42:43], v[18:19], s[6:7], -v[38:39]
	v_fma_f64 v[38:39], v[18:19], s[6:7], v[38:39]
	v_fma_f64 v[58:59], v[30:31], s[6:7], -v[56:57]
	v_fma_f64 v[56:57], v[30:31], s[6:7], v[56:57]
	v_add_f64 v[42:43], v[42:43], v[50:51]
	v_add_f64 v[38:39], v[38:39], v[48:49]
	v_mul_f64 v[48:49], v[16:17], s[42:43]
	v_add_f64 v[58:59], v[58:59], v[98:99]
	v_add_f64 v[56:57], v[56:57], v[96:97]
	v_fma_f64 v[96:97], v[30:31], s[18:19], -v[28:29]
	v_fma_f64 v[28:29], v[30:31], s[18:19], v[28:29]
	v_mul_f64 v[30:31], v[16:17], s[36:37]
	v_fma_f64 v[50:51], v[18:19], s[24:25], -v[48:49]
	v_fma_f64 v[48:49], v[18:19], s[24:25], v[48:49]
	v_add_f64 v[96:97], v[96:97], v[104:105]
	v_add_f64 v[28:29], v[28:29], v[36:37]
	v_fma_f64 v[36:37], v[18:19], s[18:19], -v[30:31]
	v_fma_f64 v[30:31], v[18:19], s[18:19], v[30:31]
	v_add_f64 v[50:51], v[50:51], v[62:63]
	v_add_f64 v[48:49], v[48:49], v[60:61]
	;; [unrolled: 1-line block ×4, first 2 shown]
	v_mul_f64 v[44:45], v[16:17], s[30:31]
	v_mul_f64 v[16:17], v[16:17], s[38:39]
	v_fma_f64 v[46:47], v[18:19], s[4:5], -v[44:45]
	v_fma_f64 v[44:45], v[18:19], s[4:5], v[44:45]
	v_add_f64 v[46:47], v[46:47], v[58:59]
	v_add_f64 v[44:45], v[44:45], v[56:57]
	v_fma_f64 v[56:57], v[18:19], s[8:9], -v[16:17]
	v_fma_f64 v[16:17], v[18:19], s[8:9], v[16:17]
	v_mul_f64 v[18:19], v[4:5], s[20:21]
	v_add_f64 v[56:57], v[56:57], v[96:97]
	v_add_f64 v[16:17], v[16:17], v[28:29]
	v_fma_f64 v[20:21], v[6:7], s[18:19], -v[18:19]
	v_fma_f64 v[18:19], v[6:7], s[18:19], v[18:19]
	v_add_f64 v[20:21], v[20:21], v[26:27]
	v_add_f64 v[18:19], v[18:19], v[24:25]
	v_fma_f64 v[24:25], v[6:7], s[4:5], -v[22:23]
	v_fma_f64 v[22:23], v[6:7], s[4:5], v[22:23]
	v_mul_f64 v[26:27], v[4:5], s[22:23]
	v_add_f64 v[24:25], v[24:25], v[36:37]
	v_add_f64 v[22:23], v[22:23], v[30:31]
	v_fma_f64 v[28:29], v[6:7], s[8:9], -v[26:27]
	v_fma_f64 v[26:27], v[6:7], s[8:9], v[26:27]
	v_mul_f64 v[30:31], v[4:5], s[42:43]
	v_add_f64 v[28:29], v[28:29], v[42:43]
	v_add_f64 v[26:27], v[26:27], v[38:39]
	v_fma_f64 v[36:37], v[6:7], s[24:25], -v[30:31]
	v_fma_f64 v[30:31], v[6:7], s[24:25], v[30:31]
	v_mul_f64 v[38:39], v[4:5], s[34:35]
	v_mul_f64 v[4:5], v[4:5], s[14:15]
	v_add_f64 v[36:37], v[36:37], v[46:47]
	v_add_f64 v[30:31], v[30:31], v[44:45]
	v_fma_f64 v[42:43], v[6:7], s[6:7], -v[38:39]
	v_fma_f64 v[44:45], v[6:7], s[16:17], -v[4:5]
	v_fma_f64 v[4:5], v[6:7], s[16:17], v[4:5]
	v_fma_f64 v[38:39], v[6:7], s[6:7], v[38:39]
	v_add_f64 v[42:43], v[42:43], v[50:51]
	v_add_f64 v[44:45], v[44:45], v[56:57]
	v_add_f64 v[16:17], v[4:5], v[16:17]
	v_mul_f64 v[4:5], v[8:9], s[26:27]
	v_add_f64 v[38:39], v[38:39], v[48:49]
	v_fma_f64 v[6:7], v[10:11], s[24:25], -v[4:5]
	v_fma_f64 v[4:5], v[10:11], s[24:25], v[4:5]
	v_add_f64 v[14:15], v[6:7], v[20:21]
	v_add_f64 v[12:13], v[4:5], v[18:19]
	v_mul_f64 v[4:5], v[8:9], s[34:35]
	v_fma_f64 v[6:7], v[10:11], s[6:7], -v[4:5]
	v_fma_f64 v[4:5], v[10:11], s[6:7], v[4:5]
	v_add_f64 v[18:19], v[6:7], v[24:25]
	v_add_f64 v[6:7], v[4:5], v[22:23]
	v_mul_f64 v[4:5], v[8:9], s[20:21]
	v_mul_f64 v[22:23], v[8:9], s[38:39]
	v_fma_f64 v[20:21], v[10:11], s[18:19], -v[4:5]
	v_fma_f64 v[4:5], v[10:11], s[18:19], v[4:5]
	v_fma_f64 v[24:25], v[10:11], s[8:9], -v[22:23]
	v_fma_f64 v[22:23], v[10:11], s[8:9], v[22:23]
	v_add_f64 v[20:21], v[20:21], v[28:29]
	v_add_f64 v[4:5], v[4:5], v[26:27]
	v_mul_f64 v[26:27], v[8:9], s[14:15]
	v_mul_f64 v[8:9], v[8:9], s[28:29]
	v_add_f64 v[22:23], v[22:23], v[30:31]
	v_add_f64 v[24:25], v[24:25], v[36:37]
	v_fma_f64 v[28:29], v[10:11], s[16:17], -v[26:27]
	v_fma_f64 v[30:31], v[10:11], s[4:5], -v[8:9]
	v_fma_f64 v[8:9], v[10:11], s[4:5], v[8:9]
	v_fma_f64 v[26:27], v[10:11], s[16:17], v[26:27]
	v_add_f64 v[28:29], v[28:29], v[42:43]
	v_add_f64 v[30:31], v[30:31], v[44:45]
	v_add_f64 v[8:9], v[8:9], v[16:17]
	v_add_f64 v[26:27], v[26:27], v[38:39]
	ds_write2_b64 v92, v[87:88], v[14:15] offset1:1
	ds_write2_b64 v92, v[18:19], v[20:21] offset0:2 offset1:3
	ds_write2_b64 v92, v[24:25], v[28:29] offset0:4 offset1:5
	;; [unrolled: 1-line block ×5, first 2 shown]
	ds_write_b64 v92, v[12:13] offset:96
	s_waitcnt lgkmcnt(0)
	s_barrier
	ds_read_b64 v[28:29], v90
	ds_read2_b64 v[8:11], v91 offset0:65 offset1:169
	ds_read2_b64 v[24:27], v93 offset0:106 offset1:210
	;; [unrolled: 1-line block ×4, first 2 shown]
	ds_read_b64 v[30:31], v91 offset:5928
                                        ; implicit-def: $vgpr38_vgpr39
	s_and_saveexec_b64 s[4:5], vcc
	s_cbranch_execz .LBB0_16
; %bb.15:
	v_add_u32_e32 v4, 0x400, v91
	v_add_u32_e32 v12, 0xc00, v91
	ds_read2_b64 v[4:7], v4 offset0:2 offset1:171
	ds_read2_b64 v[12:15], v12 offset0:84 offset1:253
	ds_read_b64 v[38:39], v91 offset:6448
.LBB0_16:
	s_or_b64 exec, exec, s[4:5]
	s_movk_i32 s4, 0x4f
	v_mul_lo_u16_sdwa v36, v82, s4 dst_sel:DWORD dst_unused:UNUSED_PAD src0_sel:BYTE_0 src1_sel:DWORD
	v_lshrrev_b16_e32 v92, 10, v36
	v_mul_lo_u16_e32 v36, 13, v92
	v_sub_u16_e32 v93, v82, v36
	v_mov_b32_e32 v36, 6
	v_lshlrev_b32_sdwa v37, v36, v93 dst_sel:DWORD dst_unused:UNUSED_PAD src0_sel:DWORD src1_sel:BYTE_0
	global_load_dwordx4 v[42:45], v37, s[12:13] offset:48
	global_load_dwordx4 v[46:49], v37, s[12:13] offset:32
	;; [unrolled: 1-line block ×3, first 2 shown]
	global_load_dwordx4 v[60:63], v37, s[12:13]
	v_add_u16_e32 v37, 0x41, v82
	v_mul_lo_u16_sdwa v50, v37, s4 dst_sel:DWORD dst_unused:UNUSED_PAD src0_sel:BYTE_0 src1_sel:DWORD
	v_lshrrev_b16_e32 v152, 10, v50
	v_mul_lo_u16_e32 v50, 13, v152
	v_sub_u16_e32 v153, v37, v50
	v_lshlrev_b32_sdwa v37, v36, v153 dst_sel:DWORD dst_unused:UNUSED_PAD src0_sel:DWORD src1_sel:BYTE_0
	global_load_dwordx4 v[94:97], v37, s[12:13] offset:16
	global_load_dwordx4 v[98:101], v37, s[12:13]
	global_load_dwordx4 v[102:105], v37, s[12:13] offset:48
	global_load_dwordx4 v[106:109], v37, s[12:13] offset:32
	v_add_u16_e32 v37, 0x82, v82
	v_mul_lo_u16_sdwa v50, v37, s4 dst_sel:DWORD dst_unused:UNUSED_PAD src0_sel:BYTE_0 src1_sel:DWORD
	v_lshrrev_b16_e32 v87, 10, v50
	v_mul_lo_u16_e32 v50, 13, v87
	v_sub_u16_e32 v88, v37, v50
	v_lshlrev_b32_sdwa v36, v36, v88 dst_sel:DWORD dst_unused:UNUSED_PAD src0_sel:DWORD src1_sel:BYTE_0
	global_load_dwordx4 v[110:113], v36, s[12:13]
	global_load_dwordx4 v[114:117], v36, s[12:13] offset:16
	global_load_dwordx4 v[118:121], v36, s[12:13] offset:32
	;; [unrolled: 1-line block ×3, first 2 shown]
	s_mov_b32 s6, 0x134454ff
	s_mov_b32 s7, 0xbfee6f0e
	;; [unrolled: 1-line block ×10, first 2 shown]
	s_movk_i32 s20, 0x208
	s_waitcnt vmcnt(0) lgkmcnt(0)
	s_barrier
	v_mul_f64 v[132:133], v[18:19], v[44:45]
	v_mul_f64 v[128:129], v[22:23], v[48:49]
	;; [unrolled: 1-line block ×12, first 2 shown]
	v_fma_f64 v[66:67], v[66:67], v[56:57], v[126:127]
	v_fma_f64 v[70:71], v[70:71], v[46:47], v[128:129]
	v_mul_f64 v[144:145], v[6:7], v[112:113]
	v_mul_f64 v[112:113], v[2:3], v[112:113]
	v_fma_f64 v[62:63], v[54:55], v[60:61], v[36:37]
	v_fma_f64 v[74:75], v[74:75], v[42:43], v[132:133]
	v_mul_f64 v[100:101], v[64:65], v[100:101]
	v_mul_f64 v[96:97], v[68:69], v[96:97]
	;; [unrolled: 1-line block ×5, first 2 shown]
	v_fma_f64 v[60:61], v[10:11], v[60:61], -v[50:51]
	v_fma_f64 v[48:49], v[26:27], v[56:57], -v[58:59]
	v_fma_f64 v[50:51], v[68:69], v[94:95], v[138:139]
	v_fma_f64 v[56:57], v[72:73], v[106:107], v[140:141]
	v_mul_f64 v[108:109], v[72:73], v[108:109]
	v_fma_f64 v[54:55], v[64:65], v[98:99], v[136:137]
	v_fma_f64 v[58:59], v[83:84], v[102:103], v[142:143]
	v_mul_f64 v[146:147], v[12:13], v[116:117]
	v_mul_f64 v[116:117], v[32:33], v[116:117]
	v_fma_f64 v[42:43], v[18:19], v[42:43], -v[134:135]
	v_fma_f64 v[26:27], v[6:7], v[110:111], -v[112:113]
	v_add_f64 v[6:7], v[66:67], v[70:71]
	v_mul_f64 v[148:149], v[14:15], v[120:121]
	v_mul_f64 v[120:121], v[34:35], v[120:121]
	v_fma_f64 v[44:45], v[22:23], v[46:47], -v[130:131]
	v_fma_f64 v[36:37], v[2:3], v[110:111], v[144:145]
	v_add_f64 v[2:3], v[40:41], v[62:63]
	v_add_f64 v[68:69], v[62:63], v[74:75]
	v_fma_f64 v[18:19], v[24:25], v[98:99], -v[100:101]
	v_fma_f64 v[20:21], v[20:21], v[94:95], -v[96:97]
	;; [unrolled: 1-line block ×4, first 2 shown]
	v_add_f64 v[38:39], v[62:63], -v[66:67]
	v_add_f64 v[64:65], v[74:75], -v[70:71]
	;; [unrolled: 1-line block ×4, first 2 shown]
	v_add_f64 v[94:95], v[50:51], v[56:57]
	v_fma_f64 v[16:17], v[16:17], v[106:107], -v[108:109]
	v_add_f64 v[104:105], v[54:55], v[58:59]
	v_fma_f64 v[30:31], v[12:13], v[114:115], -v[116:117]
	v_fma_f64 v[46:47], v[85:86], v[122:123], v[150:151]
	v_add_f64 v[12:13], v[60:61], -v[42:43]
	v_add_f64 v[85:86], v[52:53], v[54:55]
	v_fma_f64 v[6:7], v[6:7], -0.5, v[40:41]
	v_fma_f64 v[24:25], v[14:15], v[118:119], -v[120:121]
	v_add_f64 v[14:15], v[48:49], -v[44:45]
	v_add_f64 v[2:3], v[2:3], v[66:67]
	v_fma_f64 v[40:41], v[68:69], -0.5, v[40:41]
	v_add_f64 v[96:97], v[18:19], -v[10:11]
	v_add_f64 v[100:101], v[54:55], -v[50:51]
	;; [unrolled: 1-line block ×3, first 2 shown]
	v_add_f64 v[38:39], v[38:39], v[64:65]
	v_add_f64 v[64:65], v[72:73], v[83:84]
	v_fma_f64 v[72:73], v[94:95], -0.5, v[52:53]
	v_add_f64 v[98:99], v[20:21], -v[16:17]
	v_fma_f64 v[52:53], v[104:105], -0.5, v[52:53]
	v_add_f64 v[68:69], v[85:86], v[50:51]
	v_fma_f64 v[85:86], v[12:13], s[6:7], v[6:7]
	v_add_f64 v[2:3], v[2:3], v[70:71]
	v_fma_f64 v[6:7], v[12:13], s[14:15], v[6:7]
	v_fma_f64 v[94:95], v[14:15], s[14:15], v[40:41]
	;; [unrolled: 1-line block ×3, first 2 shown]
	v_add_f64 v[83:84], v[100:101], v[102:103]
	v_fma_f64 v[100:101], v[96:97], s[6:7], v[72:73]
	v_add_f64 v[106:107], v[50:51], -v[54:55]
	v_add_f64 v[108:109], v[56:57], -v[58:59]
	v_fma_f64 v[72:73], v[96:97], s[14:15], v[72:73]
	v_fma_f64 v[102:103], v[98:99], s[14:15], v[52:53]
	v_fma_f64 v[52:53], v[98:99], s[6:7], v[52:53]
	v_fma_f64 v[85:86], v[14:15], s[4:5], v[85:86]
	v_add_f64 v[104:105], v[2:3], v[74:75]
	v_fma_f64 v[2:3], v[14:15], s[16:17], v[6:7]
	v_fma_f64 v[6:7], v[12:13], s[4:5], v[94:95]
	v_fma_f64 v[12:13], v[12:13], s[16:17], v[40:41]
	v_add_f64 v[68:69], v[68:69], v[56:57]
	v_fma_f64 v[14:15], v[98:99], s[4:5], v[100:101]
	v_fma_f64 v[40:41], v[98:99], s[16:17], v[72:73]
	v_fma_f64 v[72:73], v[96:97], s[4:5], v[102:103]
	;; [unrolled: 4-line block ×3, first 2 shown]
	v_fma_f64 v[12:13], v[64:65], s[8:9], v[12:13]
	v_fma_f64 v[32:33], v[32:33], v[114:115], v[146:147]
	;; [unrolled: 1-line block ×4, first 2 shown]
	v_add_f64 v[64:65], v[68:69], v[58:59]
	v_fma_f64 v[14:15], v[83:84], s[8:9], v[14:15]
	v_fma_f64 v[68:69], v[83:84], s[8:9], v[40:41]
	;; [unrolled: 1-line block ×4, first 2 shown]
	v_mov_b32_e32 v2, 3
	v_mad_u32_u24 v3, v92, s20, 0
	v_lshlrev_b32_sdwa v41, v2, v93 dst_sel:DWORD dst_unused:UNUSED_PAD src0_sel:DWORD src1_sel:BYTE_0
	v_lshlrev_b32_e32 v40, 3, v89
	v_add3_u32 v41, v3, v41, v40
	ds_write2_b64 v41, v[104:105], v[85:86] offset1:13
	ds_write2_b64 v41, v[6:7], v[12:13] offset0:26 offset1:39
	ds_write_b64 v41, v[38:39] offset:416
	v_mad_u32_u24 v3, v152, s20, 0
	v_lshlrev_b32_sdwa v6, v2, v153 dst_sel:DWORD dst_unused:UNUSED_PAD src0_sel:DWORD src1_sel:BYTE_0
	v_add3_u32 v52, v3, v6, v40
	ds_write2_b64 v52, v[64:65], v[14:15] offset1:13
	ds_write2_b64 v52, v[72:73], v[83:84] offset0:26 offset1:39
	ds_write_b64 v52, v[68:69] offset:416
	s_and_saveexec_b64 s[18:19], vcc
	s_cbranch_execz .LBB0_18
; %bb.17:
	v_add_f64 v[6:7], v[36:37], v[46:47]
	v_add_f64 v[12:13], v[32:33], v[34:35]
	v_add_f64 v[14:15], v[26:27], -v[22:23]
	v_add_f64 v[64:65], v[0:1], v[36:37]
	v_add_f64 v[38:39], v[30:31], -v[24:25]
	v_add_f64 v[68:69], v[34:35], -v[46:47]
	;; [unrolled: 1-line block ×4, first 2 shown]
	v_fma_f64 v[6:7], v[6:7], -0.5, v[0:1]
	v_fma_f64 v[0:1], v[12:13], -0.5, v[0:1]
	v_add_f64 v[12:13], v[32:33], -v[36:37]
	v_add_f64 v[64:65], v[64:65], v[32:33]
	v_mad_u32_u24 v3, v87, s20, 0
	v_lshlrev_b32_sdwa v2, v2, v88 dst_sel:DWORD dst_unused:UNUSED_PAD src0_sel:DWORD src1_sel:BYTE_0
	v_add3_u32 v2, v3, v2, v40
	v_fma_f64 v[85:86], v[38:39], s[6:7], v[6:7]
	v_fma_f64 v[92:93], v[14:15], s[6:7], v[0:1]
	v_fma_f64 v[6:7], v[38:39], s[14:15], v[6:7]
	v_fma_f64 v[0:1], v[14:15], s[14:15], v[0:1]
	v_add_f64 v[12:13], v[12:13], v[68:69]
	v_add_f64 v[68:69], v[72:73], v[83:84]
	;; [unrolled: 1-line block ×3, first 2 shown]
	v_fma_f64 v[72:73], v[14:15], s[16:17], v[85:86]
	v_fma_f64 v[83:84], v[38:39], s[4:5], v[92:93]
	;; [unrolled: 1-line block ×4, first 2 shown]
	v_add_f64 v[14:15], v[64:65], v[46:47]
	v_fma_f64 v[38:39], v[12:13], s[8:9], v[72:73]
	v_fma_f64 v[64:65], v[68:69], s[8:9], v[83:84]
	;; [unrolled: 1-line block ×4, first 2 shown]
	ds_write2_b64 v2, v[14:15], v[64:65] offset1:13
	ds_write2_b64 v2, v[6:7], v[38:39] offset0:26 offset1:39
	ds_write_b64 v2, v[0:1] offset:416
.LBB0_18:
	s_or_b64 exec, exec, s[18:19]
	v_add_f64 v[0:1], v[48:49], v[44:45]
	v_add_f64 v[2:3], v[28:29], v[60:61]
	v_add_f64 v[6:7], v[62:63], -v[74:75]
	v_add_f64 v[62:63], v[60:61], v[42:43]
	v_add_f64 v[12:13], v[66:67], -v[70:71]
	v_add_f64 v[14:15], v[60:61], -v[48:49]
	;; [unrolled: 1-line block ×3, first 2 shown]
	v_add_f64 v[68:69], v[20:21], v[16:17]
	v_fma_f64 v[0:1], v[0:1], -0.5, v[28:29]
	v_add_f64 v[53:54], v[54:55], -v[58:59]
	v_add_f64 v[2:3], v[2:3], v[48:49]
	v_add_f64 v[48:49], v[50:51], -v[56:57]
	v_fma_f64 v[28:29], v[62:63], -0.5, v[28:29]
	v_add_f64 v[55:56], v[18:19], v[10:11]
	v_add_f64 v[38:39], v[42:43], -v[44:45]
	v_add_f64 v[64:65], v[44:45], -v[42:43]
	v_add_f64 v[66:67], v[8:9], v[18:19]
	v_fma_f64 v[50:51], v[6:7], s[14:15], v[0:1]
	v_fma_f64 v[57:58], v[68:69], -0.5, v[8:9]
	v_add_f64 v[2:3], v[2:3], v[44:45]
	v_fma_f64 v[0:1], v[6:7], s[6:7], v[0:1]
	v_fma_f64 v[44:45], v[12:13], s[6:7], v[28:29]
	v_fma_f64 v[8:9], v[55:56], -0.5, v[8:9]
	v_fma_f64 v[28:29], v[12:13], s[14:15], v[28:29]
	v_add_f64 v[14:15], v[14:15], v[38:39]
	v_add_f64 v[38:39], v[60:61], v[64:65]
	v_fma_f64 v[50:51], v[12:13], s[16:17], v[50:51]
	v_add_f64 v[59:60], v[66:67], v[20:21]
	v_fma_f64 v[55:56], v[53:54], s[14:15], v[57:58]
	;; [unrolled: 2-line block ×3, first 2 shown]
	v_fma_f64 v[2:3], v[6:7], s[16:17], v[44:45]
	v_add_f64 v[12:13], v[18:19], -v[20:21]
	v_add_f64 v[42:43], v[10:11], -v[16:17]
	v_fma_f64 v[44:45], v[53:54], s[6:7], v[57:58]
	v_fma_f64 v[57:58], v[48:49], s[6:7], v[8:9]
	v_add_f64 v[18:19], v[20:21], -v[18:19]
	v_add_f64 v[20:21], v[16:17], -v[10:11]
	v_fma_f64 v[8:9], v[48:49], s[14:15], v[8:9]
	v_fma_f64 v[6:7], v[6:7], s[4:5], v[28:29]
	v_add_f64 v[16:17], v[59:60], v[16:17]
	v_fma_f64 v[28:29], v[48:49], s[16:17], v[55:56]
	v_add_f64 v[12:13], v[12:13], v[42:43]
	v_fma_f64 v[42:43], v[48:49], s[4:5], v[44:45]
	v_fma_f64 v[44:45], v[53:54], s[16:17], v[57:58]
	v_add_f64 v[18:19], v[18:19], v[20:21]
	v_fma_f64 v[8:9], v[53:54], s[4:5], v[8:9]
	v_fma_f64 v[53:54], v[14:15], s[8:9], v[0:1]
	v_lshlrev_b32_e32 v0, 3, v82
	v_add3_u32 v48, 0, v0, v40
	v_fma_f64 v[57:58], v[38:39], s[8:9], v[6:7]
	v_add_u32_e32 v6, 0x800, v48
	v_fma_f64 v[55:56], v[38:39], s[8:9], v[2:3]
	v_add_f64 v[59:60], v[16:17], v[10:11]
	v_fma_f64 v[28:29], v[12:13], s[8:9], v[28:29]
	v_fma_f64 v[63:64], v[12:13], s[8:9], v[42:43]
	;; [unrolled: 1-line block ×4, first 2 shown]
	s_waitcnt lgkmcnt(0)
	s_barrier
	ds_read2_b64 v[0:3], v48 offset0:130 offset1:195
	ds_read2_b64 v[10:13], v6 offset0:4 offset1:69
	;; [unrolled: 1-line block ×3, first 2 shown]
	v_add_u32_e32 v6, 0x1000, v48
	v_fma_f64 v[50:51], v[14:15], s[8:9], v[50:51]
	ds_read2_b64 v[14:17], v6 offset0:8 offset1:73
	ds_read2_b64 v[6:9], v6 offset0:138 offset1:203
	ds_read_b64 v[38:39], v90
	ds_read_b64 v[42:43], v91 offset:520
	ds_read_b64 v[44:45], v48 offset:6240
	s_waitcnt lgkmcnt(0)
	s_barrier
	ds_write2_b64 v41, v[61:62], v[50:51] offset1:13
	ds_write2_b64 v41, v[55:56], v[57:58] offset0:26 offset1:39
	ds_write_b64 v41, v[53:54] offset:416
	ds_write2_b64 v52, v[59:60], v[28:29] offset1:13
	ds_write2_b64 v52, v[65:66], v[67:68] offset0:26 offset1:39
	ds_write_b64 v52, v[63:64] offset:416
	s_and_saveexec_b64 s[4:5], vcc
	s_cbranch_execz .LBB0_20
; %bb.19:
	v_add_f64 v[28:29], v[30:31], v[24:25]
	v_add_f64 v[36:37], v[36:37], -v[46:47]
	v_add_f64 v[46:47], v[26:27], v[22:23]
	v_add_f64 v[49:50], v[4:5], v[26:27]
	v_add_f64 v[32:33], v[32:33], -v[34:35]
	s_mov_b32 s6, 0x134454ff
	s_mov_b32 s7, 0x3fee6f0e
	v_add_f64 v[34:35], v[26:27], -v[30:31]
	v_fma_f64 v[28:29], v[28:29], -0.5, v[4:5]
	s_mov_b32 s15, 0xbfee6f0e
	v_fma_f64 v[4:5], v[46:47], -0.5, v[4:5]
	v_add_f64 v[46:47], v[22:23], -v[24:25]
	v_add_f64 v[26:27], v[30:31], -v[26:27]
	v_add_f64 v[30:31], v[49:50], v[30:31]
	s_mov_b32 s14, s6
	v_add_f64 v[51:52], v[24:25], -v[22:23]
	v_fma_f64 v[49:50], v[36:37], s[6:7], v[28:29]
	v_fma_f64 v[28:29], v[36:37], s[14:15], v[28:29]
	v_fma_f64 v[53:54], v[32:33], s[14:15], v[4:5]
	v_fma_f64 v[4:5], v[32:33], s[6:7], v[4:5]
	s_mov_b32 s8, 0x4755a5e
	s_mov_b32 s9, 0x3fe2cf23
	v_add_f64 v[34:35], v[34:35], v[46:47]
	v_add_f64 v[24:25], v[30:31], v[24:25]
	v_fma_f64 v[30:31], v[32:33], s[8:9], v[49:50]
	s_mov_b32 s7, 0xbfe2cf23
	s_mov_b32 s6, s8
	v_fma_f64 v[46:47], v[36:37], s[8:9], v[53:54]
	v_add_f64 v[26:27], v[26:27], v[51:52]
	v_fma_f64 v[4:5], v[36:37], s[6:7], v[4:5]
	v_fma_f64 v[28:29], v[32:33], s[6:7], v[28:29]
	s_mov_b32 s6, 0x372fe950
	s_mov_b32 s7, 0x3fd3c6ef
	v_add_f64 v[22:23], v[24:25], v[22:23]
	v_fma_f64 v[24:25], v[34:35], s[6:7], v[30:31]
	v_fma_f64 v[30:31], v[26:27], s[6:7], v[46:47]
	;; [unrolled: 1-line block ×4, first 2 shown]
	s_movk_i32 s6, 0x208
	v_mov_b32_e32 v29, 3
	v_mad_u32_u24 v28, v87, s6, 0
	v_lshlrev_b32_sdwa v29, v29, v88 dst_sel:DWORD dst_unused:UNUSED_PAD src0_sel:DWORD src1_sel:BYTE_0
	v_add3_u32 v28, v28, v29, v40
	ds_write2_b64 v28, v[22:23], v[24:25] offset1:13
	ds_write2_b64 v28, v[30:31], v[4:5] offset0:26 offset1:39
	ds_write_b64 v28, v[26:27] offset:416
.LBB0_20:
	s_or_b64 exec, exec, s[4:5]
	s_waitcnt lgkmcnt(0)
	s_barrier
	s_and_saveexec_b64 s[4:5], s[0:1]
	s_cbranch_execz .LBB0_22
; %bb.21:
	v_mul_u32_u24_e32 v4, 12, v82
	v_lshlrev_b32_e32 v4, 4, v4
	global_load_dwordx4 v[26:29], v4, s[12:13] offset:912
	global_load_dwordx4 v[22:25], v4, s[12:13] offset:928
	;; [unrolled: 1-line block ×12, first 2 shown]
	v_add_u32_e32 v46, 0x800, v48
	v_add_u32_e32 v47, 0x1000, v48
	ds_read2_b64 v[114:117], v48 offset0:130 offset1:195
	ds_read_b64 v[40:41], v90
	ds_read_b64 v[4:5], v91 offset:520
	ds_read_b64 v[50:51], v48 offset:6240
	ds_read2_b64 v[66:69], v46 offset0:134 offset1:199
	ds_read2_b64 v[84:87], v46 offset0:4 offset1:69
	;; [unrolled: 1-line block ×4, first 2 shown]
	s_mov_b32 s12, 0x4bc48dbf
	s_mov_b32 s13, 0xbfcea1e5
	;; [unrolled: 1-line block ×32, first 2 shown]
	s_waitcnt vmcnt(11)
	v_mul_f64 v[46:47], v[18:19], v[26:27]
	v_mul_f64 v[18:19], v[18:19], v[28:29]
	s_waitcnt vmcnt(10)
	v_mul_f64 v[70:71], v[20:21], v[22:23]
	v_mul_f64 v[20:21], v[20:21], v[24:25]
	s_waitcnt vmcnt(9)
	v_mul_f64 v[82:83], v[12:13], v[34:35]
	s_waitcnt vmcnt(8)
	v_mul_f64 v[96:97], v[14:15], v[30:31]
	v_mul_f64 v[14:15], v[14:15], v[32:33]
	s_waitcnt vmcnt(6)
	;; [unrolled: 5-line block ×3, first 2 shown]
	v_mul_f64 v[130:131], v[42:43], v[100:101]
	s_waitcnt vmcnt(0)
	v_mul_f64 v[132:133], v[44:45], v[104:105]
	v_mul_f64 v[42:43], v[42:43], v[102:103]
	;; [unrolled: 1-line block ×7, first 2 shown]
	s_waitcnt lgkmcnt(3)
	v_fma_f64 v[48:49], v[66:67], v[28:29], v[46:47]
	v_fma_f64 v[52:53], v[66:67], v[26:27], -v[18:19]
	v_fma_f64 v[44:45], v[68:69], v[24:25], v[70:71]
	v_fma_f64 v[46:47], v[68:69], v[22:23], -v[20:21]
	s_waitcnt lgkmcnt(2)
	v_fma_f64 v[68:69], v[86:87], v[36:37], v[82:83]
	s_waitcnt lgkmcnt(1)
	v_fma_f64 v[36:37], v[88:89], v[30:31], -v[14:15]
	v_fma_f64 v[30:31], v[90:91], v[60:61], v[112:113]
	s_waitcnt lgkmcnt(0)
	v_fma_f64 v[26:27], v[122:123], v[74:75], v[120:121]
	v_fma_f64 v[112:113], v[4:5], v[102:103], v[130:131]
	;; [unrolled: 1-line block ×3, first 2 shown]
	v_fma_f64 v[120:121], v[4:5], v[100:101], -v[42:43]
	v_fma_f64 v[22:23], v[50:51], v[104:105], -v[134:135]
	v_mul_f64 v[98:99], v[10:11], v[54:55]
	v_mul_f64 v[16:17], v[16:17], v[60:61]
	;; [unrolled: 1-line block ×5, first 2 shown]
	v_fma_f64 v[70:71], v[86:87], v[34:35], -v[12:13]
	v_fma_f64 v[34:35], v[88:89], v[32:33], v[96:97]
	v_fma_f64 v[106:107], v[114:115], v[94:95], v[126:127]
	;; [unrolled: 1-line block ×3, first 2 shown]
	v_fma_f64 v[114:115], v[114:115], v[92:93], -v[0:1]
	v_fma_f64 v[28:29], v[124:125], v[108:109], -v[8:9]
	v_add_f64 v[124:125], v[112:113], -v[20:21]
	v_add_f64 v[96:97], v[120:121], -v[22:23]
	v_mul_f64 v[10:11], v[10:11], v[56:57]
	v_fma_f64 v[82:83], v[84:85], v[56:57], v[98:99]
	v_fma_f64 v[32:33], v[90:91], v[58:59], -v[16:17]
	v_fma_f64 v[98:99], v[116:117], v[64:65], v[118:119]
	v_fma_f64 v[102:103], v[116:117], v[62:63], -v[2:3]
	v_fma_f64 v[42:43], v[122:123], v[72:73], -v[6:7]
	v_add_f64 v[122:123], v[106:107], -v[24:25]
	v_add_f64 v[88:89], v[120:121], v[22:23]
	v_add_f64 v[94:95], v[114:115], -v[28:29]
	v_add_f64 v[90:91], v[112:113], v[20:21]
	v_mul_f64 v[0:1], v[124:125], s[12:13]
	v_mul_f64 v[2:3], v[96:97], s[12:13]
	v_fma_f64 v[86:87], v[84:85], v[54:55], -v[10:11]
	v_add_f64 v[118:119], v[98:99], -v[26:27]
	v_add_f64 v[74:75], v[114:115], v[28:29]
	v_add_f64 v[66:67], v[102:103], -v[42:43]
	v_add_f64 v[84:85], v[106:107], v[24:25]
	v_mul_f64 v[4:5], v[122:123], s[14:15]
	v_mul_f64 v[6:7], v[94:95], s[14:15]
	v_fma_f64 v[8:9], v[88:89], s[6:7], v[0:1]
	v_fma_f64 v[10:11], v[90:91], s[6:7], -v[2:3]
	v_add_f64 v[110:111], v[82:83], -v[30:31]
	v_add_f64 v[60:61], v[102:103], v[42:43]
	v_add_f64 v[62:63], v[86:87], -v[32:33]
	v_add_f64 v[58:59], v[98:99], v[26:27]
	v_mul_f64 v[12:13], v[118:119], s[4:5]
	v_mul_f64 v[14:15], v[66:67], s[4:5]
	v_fma_f64 v[16:17], v[74:75], s[8:9], v[4:5]
	v_fma_f64 v[18:19], v[84:85], s[8:9], -v[6:7]
	v_add_f64 v[8:9], v[40:41], v[8:9]
	v_add_f64 v[10:11], v[38:39], v[10:11]
	;; [unrolled: 1-line block ×4, first 2 shown]
	v_add_f64 v[108:109], v[68:69], -v[34:35]
	v_add_f64 v[72:73], v[70:71], -v[36:37]
	v_mul_f64 v[126:127], v[110:111], s[22:23]
	v_mul_f64 v[128:129], v[62:63], s[22:23]
	v_fma_f64 v[100:101], v[60:61], s[0:1], v[12:13]
	v_fma_f64 v[104:105], v[58:59], s[0:1], -v[14:15]
	v_add_f64 v[8:9], v[16:17], v[8:9]
	v_add_f64 v[10:11], v[18:19], v[10:11]
	;; [unrolled: 1-line block ×4, first 2 shown]
	v_mul_f64 v[16:17], v[108:109], s[18:19]
	v_mul_f64 v[18:19], v[72:73], s[18:19]
	v_fma_f64 v[130:131], v[50:51], s[20:21], v[126:127]
	v_fma_f64 v[132:133], v[54:55], s[20:21], -v[128:129]
	v_add_f64 v[8:9], v[100:101], v[8:9]
	v_add_f64 v[10:11], v[104:105], v[10:11]
	v_fma_f64 v[0:1], v[88:89], s[6:7], -v[0:1]
	v_fma_f64 v[4:5], v[74:75], s[8:9], -v[4:5]
	v_fma_f64 v[134:135], v[56:57], s[16:17], v[16:17]
	v_fma_f64 v[136:137], v[64:65], s[16:17], -v[18:19]
	v_fma_f64 v[2:3], v[90:91], s[6:7], v[2:3]
	v_mul_f64 v[138:139], v[124:125], s[4:5]
	v_add_f64 v[8:9], v[130:131], v[8:9]
	v_add_f64 v[10:11], v[132:133], v[10:11]
	;; [unrolled: 1-line block ×3, first 2 shown]
	v_mul_f64 v[142:143], v[122:123], s[26:27]
	v_add_f64 v[92:93], v[48:49], -v[44:45]
	v_mul_f64 v[146:147], v[118:119], s[28:29]
	v_add_f64 v[2:3], v[38:39], v[2:3]
	v_add_f64 v[100:101], v[52:53], v[46:47]
	;; [unrolled: 1-line block ×5, first 2 shown]
	v_fma_f64 v[4:5], v[84:85], s[8:9], v[6:7]
	v_fma_f64 v[6:7], v[60:61], s[0:1], -v[12:13]
	v_fma_f64 v[134:135], v[88:89], s[0:1], v[138:139]
	v_mul_f64 v[136:137], v[96:97], s[4:5]
	v_fma_f64 v[144:145], v[74:75], s[24:25], v[142:143]
	v_add_f64 v[116:117], v[52:53], -v[46:47]
	v_mul_f64 v[130:131], v[92:93], s[26:27]
	v_fma_f64 v[128:129], v[54:55], s[20:21], v[128:129]
	v_add_f64 v[2:3], v[4:5], v[2:3]
	v_add_f64 v[0:1], v[6:7], v[0:1]
	v_fma_f64 v[4:5], v[58:59], s[0:1], v[14:15]
	v_fma_f64 v[6:7], v[50:51], s[20:21], -v[126:127]
	v_add_f64 v[14:15], v[40:41], v[134:135]
	v_fma_f64 v[126:127], v[90:91], s[0:1], -v[136:137]
	v_mul_f64 v[134:135], v[94:95], s[26:27]
	v_mul_f64 v[148:149], v[110:111], s[36:37]
	v_add_f64 v[104:105], v[48:49], v[44:45]
	v_mul_f64 v[132:133], v[116:117], s[26:27]
	v_add_f64 v[2:3], v[4:5], v[2:3]
	v_add_f64 v[0:1], v[6:7], v[0:1]
	;; [unrolled: 1-line block ×4, first 2 shown]
	v_fma_f64 v[6:7], v[84:85], s[24:25], -v[134:135]
	v_mul_f64 v[126:127], v[66:67], s[28:29]
	v_fma_f64 v[144:145], v[60:61], s[20:21], v[146:147]
	v_fma_f64 v[12:13], v[100:101], s[24:25], v[130:131]
	v_mul_f64 v[150:151], v[62:63], s[36:37]
	v_add_f64 v[2:3], v[128:129], v[2:3]
	v_fma_f64 v[16:17], v[56:57], s[16:17], -v[16:17]
	v_fma_f64 v[18:19], v[64:65], s[16:17], v[18:19]
	v_add_f64 v[4:5], v[6:7], v[4:5]
	v_fma_f64 v[6:7], v[58:59], s[20:21], -v[126:127]
	v_add_f64 v[14:15], v[144:145], v[14:15]
	v_fma_f64 v[128:129], v[50:51], s[6:7], v[148:149]
	v_mul_f64 v[144:145], v[108:109], s[14:15]
	v_fma_f64 v[140:141], v[104:105], s[24:25], -v[132:133]
	v_add_f64 v[16:17], v[16:17], v[0:1]
	v_add_f64 v[18:19], v[18:19], v[2:3]
	v_fma_f64 v[130:131], v[100:101], s[24:25], -v[130:131]
	v_add_f64 v[4:5], v[6:7], v[4:5]
	v_fma_f64 v[6:7], v[54:55], s[6:7], -v[150:151]
	v_fma_f64 v[132:133], v[104:105], s[24:25], v[132:133]
	v_add_f64 v[14:15], v[128:129], v[14:15]
	v_fma_f64 v[128:129], v[56:57], s[8:9], v[144:145]
	v_add_f64 v[2:3], v[12:13], v[8:9]
	v_fma_f64 v[8:9], v[88:89], s[0:1], -v[138:139]
	v_add_f64 v[0:1], v[140:141], v[10:11]
	v_mul_f64 v[12:13], v[92:93], s[18:19]
	v_add_f64 v[154:155], v[6:7], v[4:5]
	v_add_f64 v[6:7], v[130:131], v[16:17]
	;; [unrolled: 1-line block ×4, first 2 shown]
	v_mul_f64 v[128:129], v[124:125], s[18:19]
	v_fma_f64 v[16:17], v[74:75], s[24:25], -v[142:143]
	v_add_f64 v[8:9], v[40:41], v[8:9]
	v_fma_f64 v[132:133], v[90:91], s[0:1], v[136:137]
	v_mul_f64 v[152:153], v[72:73], s[14:15]
	v_fma_f64 v[18:19], v[100:101], s[16:17], v[12:13]
	v_mul_f64 v[138:139], v[122:123], s[34:35]
	v_fma_f64 v[134:135], v[84:85], s[24:25], v[134:135]
	v_fma_f64 v[136:137], v[88:89], s[16:17], v[128:129]
	v_mul_f64 v[140:141], v[96:97], s[18:19]
	v_add_f64 v[8:9], v[16:17], v[8:9]
	v_fma_f64 v[16:17], v[60:61], s[20:21], -v[146:147]
	v_add_f64 v[132:133], v[38:39], v[132:133]
	v_fma_f64 v[156:157], v[64:65], s[8:9], -v[152:153]
	v_add_f64 v[10:11], v[18:19], v[10:11]
	v_mul_f64 v[142:143], v[118:119], s[14:15]
	v_add_f64 v[18:19], v[40:41], v[136:137]
	v_fma_f64 v[136:137], v[74:75], s[0:1], v[138:139]
	v_fma_f64 v[126:127], v[58:59], s[20:21], v[126:127]
	v_add_f64 v[8:9], v[16:17], v[8:9]
	v_add_f64 v[16:17], v[134:135], v[132:133]
	v_fma_f64 v[132:133], v[90:91], s[16:17], -v[140:141]
	v_mul_f64 v[134:135], v[94:95], s[34:35]
	v_add_f64 v[14:15], v[156:157], v[154:155]
	v_mul_f64 v[154:155], v[110:111], s[30:31]
	v_add_f64 v[18:19], v[136:137], v[18:19]
	v_fma_f64 v[136:137], v[60:61], s[8:9], v[142:143]
	v_mul_f64 v[158:159], v[66:67], s[14:15]
	v_fma_f64 v[148:149], v[50:51], s[6:7], -v[148:149]
	v_add_f64 v[132:133], v[38:39], v[132:133]
	v_fma_f64 v[156:157], v[84:85], s[0:1], -v[134:135]
	v_add_f64 v[16:17], v[126:127], v[16:17]
	v_fma_f64 v[126:127], v[54:55], s[6:7], v[150:151]
	v_mul_f64 v[150:151], v[108:109], s[36:37]
	v_add_f64 v[18:19], v[136:137], v[18:19]
	v_fma_f64 v[136:137], v[50:51], s[24:25], v[154:155]
	v_mul_f64 v[160:161], v[62:63], s[30:31]
	v_mul_f64 v[130:131], v[116:117], s[18:19]
	v_add_f64 v[132:133], v[156:157], v[132:133]
	v_fma_f64 v[156:157], v[58:59], s[8:9], -v[158:159]
	v_add_f64 v[8:9], v[148:149], v[8:9]
	v_add_f64 v[16:17], v[126:127], v[16:17]
	v_fma_f64 v[126:127], v[64:65], s[8:9], v[152:153]
	v_add_f64 v[18:19], v[136:137], v[18:19]
	v_fma_f64 v[136:137], v[56:57], s[6:7], v[150:151]
	v_fma_f64 v[148:149], v[54:55], s[24:25], -v[160:161]
	v_fma_f64 v[146:147], v[104:105], s[16:17], -v[130:131]
	v_add_f64 v[132:133], v[156:157], v[132:133]
	v_mul_f64 v[156:157], v[92:93], s[22:23]
	v_fma_f64 v[144:145], v[56:57], s[8:9], -v[144:145]
	v_mul_f64 v[152:153], v[72:73], s[36:37]
	v_add_f64 v[16:17], v[126:127], v[16:17]
	v_fma_f64 v[126:127], v[104:105], s[16:17], v[130:131]
	v_add_f64 v[130:131], v[136:137], v[18:19]
	v_fma_f64 v[12:13], v[100:101], s[16:17], -v[12:13]
	v_add_f64 v[132:133], v[148:149], v[132:133]
	v_fma_f64 v[148:149], v[100:101], s[20:21], v[156:157]
	v_add_f64 v[144:145], v[144:145], v[8:9]
	v_fma_f64 v[136:137], v[64:65], s[6:7], -v[152:153]
	v_add_f64 v[8:9], v[146:147], v[14:15]
	v_mul_f64 v[146:147], v[124:125], s[30:31]
	v_add_f64 v[16:17], v[126:127], v[16:17]
	v_fma_f64 v[126:127], v[88:89], s[16:17], -v[128:129]
	v_fma_f64 v[138:139], v[74:75], s[0:1], -v[138:139]
	v_add_f64 v[14:15], v[148:149], v[130:131]
	v_fma_f64 v[130:131], v[90:91], s[16:17], v[140:141]
	v_add_f64 v[18:19], v[12:13], v[144:145]
	v_add_f64 v[128:129], v[136:137], v[132:133]
	v_fma_f64 v[132:133], v[88:89], s[24:25], v[146:147]
	v_mul_f64 v[136:137], v[122:123], s[12:13]
	v_add_f64 v[126:127], v[40:41], v[126:127]
	v_fma_f64 v[134:135], v[84:85], s[0:1], v[134:135]
	v_mul_f64 v[144:145], v[96:97], s[30:31]
	v_add_f64 v[130:131], v[38:39], v[130:131]
	v_mul_f64 v[12:13], v[116:117], s[22:23]
	s_mov_b32 s23, 0x3fedeba7
	s_mov_b32 s22, s18
	v_add_f64 v[132:133], v[40:41], v[132:133]
	v_fma_f64 v[148:149], v[74:75], s[6:7], v[136:137]
	v_mul_f64 v[162:163], v[118:119], s[22:23]
	v_add_f64 v[126:127], v[138:139], v[126:127]
	v_fma_f64 v[138:139], v[90:91], s[24:25], -v[144:145]
	v_mul_f64 v[164:165], v[94:95], s[12:13]
	v_fma_f64 v[142:143], v[60:61], s[8:9], -v[142:143]
	v_add_f64 v[130:131], v[134:135], v[130:131]
	v_fma_f64 v[134:135], v[58:59], s[8:9], v[158:159]
	v_add_f64 v[132:133], v[148:149], v[132:133]
	v_fma_f64 v[148:149], v[60:61], s[16:17], v[162:163]
	v_mul_f64 v[158:159], v[110:111], s[14:15]
	v_add_f64 v[138:139], v[38:39], v[138:139]
	v_fma_f64 v[166:167], v[84:85], s[6:7], -v[164:165]
	v_mul_f64 v[168:169], v[66:67], s[22:23]
	v_add_f64 v[126:127], v[142:143], v[126:127]
	v_fma_f64 v[142:143], v[50:51], s[24:25], -v[154:155]
	v_add_f64 v[130:131], v[134:135], v[130:131]
	v_fma_f64 v[134:135], v[54:55], s[24:25], v[160:161]
	v_add_f64 v[132:133], v[148:149], v[132:133]
	v_fma_f64 v[148:149], v[50:51], s[8:9], v[158:159]
	v_add_f64 v[138:139], v[166:167], v[138:139]
	v_fma_f64 v[154:155], v[58:59], s[16:17], -v[168:169]
	v_mul_f64 v[160:161], v[62:63], s[14:15]
	v_add_f64 v[126:127], v[142:143], v[126:127]
	v_fma_f64 v[150:151], v[56:57], s[6:7], -v[150:151]
	v_add_f64 v[130:131], v[134:135], v[130:131]
	v_fma_f64 v[134:135], v[64:65], s[6:7], v[152:153]
	v_fma_f64 v[140:141], v[104:105], s[20:21], -v[12:13]
	v_add_f64 v[132:133], v[148:149], v[132:133]
	v_add_f64 v[138:139], v[154:155], v[138:139]
	v_fma_f64 v[148:149], v[54:55], s[8:9], -v[160:161]
	v_mul_f64 v[152:153], v[72:73], s[28:29]
	v_add_f64 v[126:127], v[150:151], v[126:127]
	v_fma_f64 v[150:151], v[104:105], s[20:21], v[12:13]
	v_add_f64 v[130:131], v[134:135], v[130:131]
	v_fma_f64 v[134:135], v[100:101], s[20:21], -v[156:157]
	v_add_f64 v[12:13], v[140:141], v[128:129]
	v_mul_f64 v[140:141], v[124:125], s[28:29]
	v_add_f64 v[138:139], v[148:149], v[138:139]
	v_fma_f64 v[148:149], v[64:65], s[20:21], -v[152:153]
	v_fma_f64 v[144:145], v[90:91], s[24:25], v[144:145]
	v_fma_f64 v[136:137], v[74:75], s[6:7], -v[136:137]
	v_fma_f64 v[156:157], v[84:85], s[6:7], v[164:165]
	v_add_f64 v[128:129], v[134:135], v[126:127]
	v_add_f64 v[126:127], v[150:151], v[130:131]
	v_fma_f64 v[130:131], v[88:89], s[24:25], -v[146:147]
	v_fma_f64 v[146:147], v[88:89], s[20:21], v[140:141]
	v_add_f64 v[134:135], v[148:149], v[138:139]
	v_mul_f64 v[148:149], v[122:123], s[18:19]
	v_mul_f64 v[150:151], v[96:97], s[28:29]
	v_add_f64 v[144:145], v[38:39], v[144:145]
	v_mul_f64 v[170:171], v[118:119], s[12:13]
	v_mul_f64 v[172:173], v[94:95], s[18:19]
	v_add_f64 v[130:131], v[40:41], v[130:131]
	v_add_f64 v[146:147], v[40:41], v[146:147]
	v_fma_f64 v[162:163], v[60:61], s[16:17], -v[162:163]
	v_fma_f64 v[164:165], v[74:75], s[16:17], v[148:149]
	v_mul_f64 v[142:143], v[108:109], s[28:29]
	v_add_f64 v[144:145], v[156:157], v[144:145]
	v_fma_f64 v[156:157], v[58:59], s[16:17], v[168:169]
	v_mul_f64 v[168:169], v[110:111], s[34:35]
	v_add_f64 v[130:131], v[136:137], v[130:131]
	v_fma_f64 v[136:137], v[90:91], s[20:21], -v[150:151]
	v_fma_f64 v[174:175], v[84:85], s[16:17], -v[172:173]
	v_add_f64 v[146:147], v[164:165], v[146:147]
	v_fma_f64 v[164:165], v[60:61], s[6:7], v[170:171]
	v_mul_f64 v[176:177], v[66:67], s[12:13]
	v_fma_f64 v[158:159], v[50:51], s[8:9], -v[158:159]
	v_fma_f64 v[154:155], v[56:57], s[20:21], v[142:143]
	v_add_f64 v[130:131], v[162:163], v[130:131]
	v_add_f64 v[136:137], v[38:39], v[136:137]
	v_mul_f64 v[166:167], v[92:93], s[4:5]
	v_add_f64 v[144:145], v[156:157], v[144:145]
	v_fma_f64 v[156:157], v[54:55], s[8:9], v[160:161]
	v_add_f64 v[146:147], v[164:165], v[146:147]
	v_fma_f64 v[160:161], v[50:51], s[0:1], v[168:169]
	v_fma_f64 v[162:163], v[58:59], s[6:7], -v[176:177]
	v_mul_f64 v[164:165], v[62:63], s[34:35]
	v_add_f64 v[136:137], v[174:175], v[136:137]
	v_add_f64 v[130:131], v[158:159], v[130:131]
	v_mul_f64 v[158:159], v[108:109], s[26:27]
	v_add_f64 v[120:121], v[40:41], v[120:121]
	v_add_f64 v[112:113], v[38:39], v[112:113]
	;; [unrolled: 1-line block ×3, first 2 shown]
	v_fma_f64 v[154:155], v[100:101], s[0:1], v[166:167]
	v_mul_f64 v[138:139], v[116:117], s[4:5]
	v_fma_f64 v[142:143], v[56:57], s[20:21], -v[142:143]
	v_add_f64 v[144:145], v[156:157], v[144:145]
	v_fma_f64 v[152:153], v[64:65], s[20:21], v[152:153]
	v_add_f64 v[146:147], v[160:161], v[146:147]
	v_add_f64 v[136:137], v[162:163], v[136:137]
	v_fma_f64 v[156:157], v[54:55], s[0:1], -v[164:165]
	v_mul_f64 v[160:161], v[72:73], s[26:27]
	v_fma_f64 v[162:163], v[56:57], s[24:25], v[158:159]
	v_add_f64 v[114:115], v[114:115], v[120:121]
	v_add_f64 v[106:107], v[106:107], v[112:113]
	;; [unrolled: 1-line block ×3, first 2 shown]
	v_fma_f64 v[154:155], v[104:105], s[0:1], -v[138:139]
	v_add_f64 v[142:143], v[142:143], v[130:131]
	v_mul_f64 v[174:175], v[92:93], s[14:15]
	v_add_f64 v[144:145], v[152:153], v[144:145]
	v_fma_f64 v[152:153], v[100:101], s[0:1], -v[166:167]
	v_fma_f64 v[138:139], v[104:105], s[0:1], v[138:139]
	v_add_f64 v[156:157], v[156:157], v[136:137]
	v_fma_f64 v[166:167], v[64:65], s[24:25], -v[160:161]
	v_add_f64 v[146:147], v[162:163], v[146:147]
	v_mul_f64 v[162:163], v[116:117], s[14:15]
	v_add_f64 v[102:103], v[102:103], v[114:115]
	v_add_f64 v[98:99], v[98:99], v[106:107]
	s_mov_b32 s15, 0xbfddbe06
	v_fma_f64 v[178:179], v[100:101], s[8:9], v[174:175]
	v_add_f64 v[130:131], v[154:155], v[134:135]
	v_add_f64 v[136:137], v[152:153], v[142:143]
	;; [unrolled: 1-line block ×3, first 2 shown]
	v_fma_f64 v[138:139], v[88:89], s[20:21], -v[140:141]
	v_add_f64 v[142:143], v[166:167], v[156:157]
	v_fma_f64 v[144:145], v[90:91], s[20:21], v[150:151]
	v_fma_f64 v[150:151], v[104:105], s[8:9], -v[162:163]
	v_mul_f64 v[124:125], v[124:125], s[14:15]
	v_add_f64 v[86:87], v[86:87], v[102:103]
	v_add_f64 v[82:83], v[82:83], v[98:99]
	v_add_f64 v[140:141], v[178:179], v[146:147]
	v_fma_f64 v[146:147], v[74:75], s[16:17], -v[148:149]
	v_add_f64 v[148:149], v[40:41], v[138:139]
	v_fma_f64 v[152:153], v[84:85], s[16:17], v[172:173]
	v_add_f64 v[144:145], v[38:39], v[144:145]
	v_add_f64 v[138:139], v[150:151], v[142:143]
	v_fma_f64 v[142:143], v[88:89], s[8:9], v[124:125]
	v_mul_f64 v[122:123], v[122:123], s[28:29]
	v_mul_f64 v[96:97], v[96:97], s[14:15]
	v_add_f64 v[70:71], v[70:71], v[86:87]
	v_add_f64 v[68:69], v[68:69], v[82:83]
	v_fma_f64 v[150:151], v[58:59], s[6:7], v[176:177]
	v_add_f64 v[144:145], v[152:153], v[144:145]
	v_mul_f64 v[118:119], v[118:119], s[30:31]
	v_add_f64 v[142:143], v[40:41], v[142:143]
	v_fma_f64 v[152:153], v[74:75], s[20:21], v[122:123]
	v_mul_f64 v[94:95], v[94:95], s[28:29]
	v_fma_f64 v[82:83], v[90:91], s[8:9], -v[96:97]
	v_fma_f64 v[88:89], v[88:89], s[8:9], -v[124:125]
	v_add_f64 v[52:53], v[52:53], v[70:71]
	v_fma_f64 v[90:91], v[90:91], s[8:9], v[96:97]
	v_add_f64 v[48:49], v[48:49], v[68:69]
	v_add_f64 v[120:121], v[150:151], v[144:145]
	;; [unrolled: 1-line block ×3, first 2 shown]
	v_fma_f64 v[144:145], v[60:61], s[24:25], v[118:119]
	v_mul_f64 v[110:111], v[110:111], s[18:19]
	v_fma_f64 v[96:97], v[84:85], s[20:21], -v[94:95]
	v_add_f64 v[68:69], v[38:39], v[82:83]
	v_fma_f64 v[74:75], v[74:75], s[20:21], -v[122:123]
	v_add_f64 v[40:41], v[40:41], v[88:89]
	v_add_f64 v[46:47], v[46:47], v[52:53]
	v_mul_f64 v[52:53], v[66:67], s[30:31]
	v_fma_f64 v[82:83], v[84:85], s[20:21], v[94:95]
	v_add_f64 v[38:39], v[38:39], v[90:91]
	v_add_f64 v[44:45], v[44:45], v[48:49]
	;; [unrolled: 1-line block ×3, first 2 shown]
	v_fma_f64 v[148:149], v[60:61], s[6:7], -v[170:171]
	v_add_f64 v[114:115], v[144:145], v[142:143]
	v_fma_f64 v[142:143], v[50:51], s[16:17], v[110:111]
	v_mul_f64 v[98:99], v[108:109], s[4:5]
	v_add_f64 v[48:49], v[96:97], v[68:69]
	v_fma_f64 v[60:61], v[60:61], s[24:25], -v[118:119]
	v_mul_f64 v[62:63], v[62:63], s[18:19]
	v_add_f64 v[40:41], v[74:75], v[40:41]
	v_fma_f64 v[74:75], v[58:59], s[24:25], -v[52:53]
	v_fma_f64 v[52:53], v[58:59], s[24:25], v[52:53]
	v_add_f64 v[38:39], v[82:83], v[38:39]
	v_add_f64 v[36:37], v[36:37], v[46:47]
	;; [unrolled: 1-line block ×4, first 2 shown]
	v_fma_f64 v[86:87], v[56:57], s[0:1], v[98:99]
	v_mul_f64 v[72:73], v[72:73], s[4:5]
	v_fma_f64 v[44:45], v[54:55], s[16:17], -v[62:63]
	v_add_f64 v[46:47], v[74:75], v[48:49]
	v_fma_f64 v[48:49], v[50:51], s[16:17], -v[110:111]
	v_add_f64 v[40:41], v[60:61], v[40:41]
	v_fma_f64 v[112:113], v[50:51], s[0:1], -v[168:169]
	v_fma_f64 v[50:51], v[54:55], s[16:17], v[62:63]
	v_add_f64 v[38:39], v[52:53], v[38:39]
	v_add_f64 v[32:33], v[32:33], v[36:37]
	;; [unrolled: 1-line block ×4, first 2 shown]
	v_fma_f64 v[148:149], v[54:55], s[0:1], v[164:165]
	v_add_f64 v[70:71], v[86:87], v[108:109]
	v_mul_f64 v[66:67], v[92:93], s[12:13]
	v_mul_f64 v[86:87], v[116:117], s[12:13]
	v_fma_f64 v[34:35], v[64:65], s[0:1], -v[72:73]
	v_add_f64 v[36:37], v[44:45], v[46:47]
	v_fma_f64 v[44:45], v[56:57], s[0:1], -v[98:99]
	v_add_f64 v[40:41], v[48:49], v[40:41]
	v_fma_f64 v[46:47], v[64:65], s[0:1], v[72:73]
	v_add_f64 v[38:39], v[50:51], v[38:39]
	v_add_f64 v[32:33], v[42:43], v[32:33]
	;; [unrolled: 1-line block ×4, first 2 shown]
	v_fma_f64 v[112:113], v[56:57], s[24:25], -v[158:159]
	v_add_f64 v[120:121], v[148:149], v[120:121]
	v_fma_f64 v[102:103], v[64:65], s[24:25], v[160:161]
	v_fma_f64 v[42:43], v[104:105], s[6:7], -v[86:87]
	v_add_f64 v[34:35], v[34:35], v[36:37]
	v_fma_f64 v[36:37], v[100:101], s[6:7], -v[66:67]
	v_add_f64 v[40:41], v[44:45], v[40:41]
	v_fma_f64 v[44:45], v[104:105], s[6:7], v[86:87]
	v_add_f64 v[38:39], v[46:47], v[38:39]
	v_add_f64 v[46:47], v[28:29], v[32:33]
	;; [unrolled: 1-line block ×3, first 2 shown]
	v_mul_lo_u32 v154, s3, v78
	v_mul_lo_u32 v155, s2, v79
	v_mad_u64_u32 v[78:79], s[2:3], s2, v78, 0
	v_add_f64 v[106:107], v[112:113], v[106:107]
	v_add_f64 v[102:103], v[102:103], v[120:121]
	v_fma_f64 v[68:69], v[100:101], s[8:9], -v[174:175]
	v_fma_f64 v[84:85], v[104:105], s[8:9], v[162:163]
	v_add3_u32 v79, v79, v155, v154
	v_fma_f64 v[58:59], v[100:101], s[6:7], v[66:67]
	v_add_f64 v[28:29], v[42:43], v[34:35]
	v_add_f64 v[34:35], v[36:37], v[40:41]
	v_lshlrev_b64 v[36:37], 4, v[78:79]
	v_add_f64 v[32:33], v[44:45], v[38:39]
	v_add_f64 v[22:23], v[22:23], v[46:47]
	;; [unrolled: 1-line block ×3, first 2 shown]
	v_mov_b32_e32 v38, s11
	v_add_co_u32_e32 v39, vcc, s10, v36
	v_addc_co_u32_e32 v38, vcc, v38, v37, vcc
	v_lshlrev_b64 v[36:37], 4, v[76:77]
	v_add_f64 v[26:27], v[68:69], v[106:107]
	v_add_f64 v[24:25], v[84:85], v[102:103]
	v_add_co_u32_e32 v39, vcc, v39, v36
	v_addc_co_u32_e32 v38, vcc, v38, v37, vcc
	v_lshlrev_b64 v[36:37], 4, v[80:81]
	v_add_f64 v[30:31], v[58:59], v[70:71]
	v_add_co_u32_e32 v36, vcc, v39, v36
	s_movk_i32 s2, 0x1000
	v_addc_co_u32_e32 v37, vcc, v38, v37, vcc
	global_store_dwordx4 v[36:37], v[20:23], off
	global_store_dwordx4 v[36:37], v[32:35], off offset:1040
	global_store_dwordx4 v[36:37], v[24:27], off offset:2080
	;; [unrolled: 1-line block ×3, first 2 shown]
	v_add_co_u32_e32 v20, vcc, s2, v36
	v_addc_co_u32_e32 v21, vcc, 0, v37, vcc
	s_movk_i32 s0, 0x2000
	global_store_dwordx4 v[20:21], v[126:129], off offset:64
	global_store_dwordx4 v[20:21], v[16:19], off offset:1104
	global_store_dwordx4 v[20:21], v[4:7], off offset:2144
	global_store_dwordx4 v[20:21], v[0:3], off offset:3184
	s_nop 0
	v_add_co_u32_e32 v0, vcc, s0, v36
	v_addc_co_u32_e32 v1, vcc, 0, v37, vcc
	global_store_dwordx4 v[0:1], v[8:11], off offset:128
	global_store_dwordx4 v[0:1], v[12:15], off offset:1168
	global_store_dwordx4 v[0:1], v[130:133], off offset:2208
	global_store_dwordx4 v[0:1], v[138:141], off offset:3248
	v_add_co_u32_e32 v0, vcc, 0x3000, v36
	v_addc_co_u32_e32 v1, vcc, 0, v37, vcc
	global_store_dwordx4 v[0:1], v[28:31], off offset:192
.LBB0_22:
	s_endpgm
	.section	.rodata,"a",@progbits
	.p2align	6, 0x0
	.amdhsa_kernel fft_rtc_back_len845_factors_13_5_13_wgs_195_tpt_65_halfLds_dp_op_CI_CI_unitstride_sbrr_dirReg
		.amdhsa_group_segment_fixed_size 0
		.amdhsa_private_segment_fixed_size 0
		.amdhsa_kernarg_size 104
		.amdhsa_user_sgpr_count 6
		.amdhsa_user_sgpr_private_segment_buffer 1
		.amdhsa_user_sgpr_dispatch_ptr 0
		.amdhsa_user_sgpr_queue_ptr 0
		.amdhsa_user_sgpr_kernarg_segment_ptr 1
		.amdhsa_user_sgpr_dispatch_id 0
		.amdhsa_user_sgpr_flat_scratch_init 0
		.amdhsa_user_sgpr_private_segment_size 0
		.amdhsa_uses_dynamic_stack 0
		.amdhsa_system_sgpr_private_segment_wavefront_offset 0
		.amdhsa_system_sgpr_workgroup_id_x 1
		.amdhsa_system_sgpr_workgroup_id_y 0
		.amdhsa_system_sgpr_workgroup_id_z 0
		.amdhsa_system_sgpr_workgroup_info 0
		.amdhsa_system_vgpr_workitem_id 0
		.amdhsa_next_free_vgpr 180
		.amdhsa_next_free_sgpr 48
		.amdhsa_reserve_vcc 1
		.amdhsa_reserve_flat_scratch 0
		.amdhsa_float_round_mode_32 0
		.amdhsa_float_round_mode_16_64 0
		.amdhsa_float_denorm_mode_32 3
		.amdhsa_float_denorm_mode_16_64 3
		.amdhsa_dx10_clamp 1
		.amdhsa_ieee_mode 1
		.amdhsa_fp16_overflow 0
		.amdhsa_exception_fp_ieee_invalid_op 0
		.amdhsa_exception_fp_denorm_src 0
		.amdhsa_exception_fp_ieee_div_zero 0
		.amdhsa_exception_fp_ieee_overflow 0
		.amdhsa_exception_fp_ieee_underflow 0
		.amdhsa_exception_fp_ieee_inexact 0
		.amdhsa_exception_int_div_zero 0
	.end_amdhsa_kernel
	.text
.Lfunc_end0:
	.size	fft_rtc_back_len845_factors_13_5_13_wgs_195_tpt_65_halfLds_dp_op_CI_CI_unitstride_sbrr_dirReg, .Lfunc_end0-fft_rtc_back_len845_factors_13_5_13_wgs_195_tpt_65_halfLds_dp_op_CI_CI_unitstride_sbrr_dirReg
                                        ; -- End function
	.section	.AMDGPU.csdata,"",@progbits
; Kernel info:
; codeLenInByte = 12320
; NumSgprs: 52
; NumVgprs: 180
; ScratchSize: 0
; MemoryBound: 1
; FloatMode: 240
; IeeeMode: 1
; LDSByteSize: 0 bytes/workgroup (compile time only)
; SGPRBlocks: 6
; VGPRBlocks: 44
; NumSGPRsForWavesPerEU: 52
; NumVGPRsForWavesPerEU: 180
; Occupancy: 1
; WaveLimiterHint : 1
; COMPUTE_PGM_RSRC2:SCRATCH_EN: 0
; COMPUTE_PGM_RSRC2:USER_SGPR: 6
; COMPUTE_PGM_RSRC2:TRAP_HANDLER: 0
; COMPUTE_PGM_RSRC2:TGID_X_EN: 1
; COMPUTE_PGM_RSRC2:TGID_Y_EN: 0
; COMPUTE_PGM_RSRC2:TGID_Z_EN: 0
; COMPUTE_PGM_RSRC2:TIDIG_COMP_CNT: 0
	.type	__hip_cuid_b7df01d6c2e3e3a2,@object ; @__hip_cuid_b7df01d6c2e3e3a2
	.section	.bss,"aw",@nobits
	.globl	__hip_cuid_b7df01d6c2e3e3a2
__hip_cuid_b7df01d6c2e3e3a2:
	.byte	0                               ; 0x0
	.size	__hip_cuid_b7df01d6c2e3e3a2, 1

	.ident	"AMD clang version 19.0.0git (https://github.com/RadeonOpenCompute/llvm-project roc-6.4.0 25133 c7fe45cf4b819c5991fe208aaa96edf142730f1d)"
	.section	".note.GNU-stack","",@progbits
	.addrsig
	.addrsig_sym __hip_cuid_b7df01d6c2e3e3a2
	.amdgpu_metadata
---
amdhsa.kernels:
  - .args:
      - .actual_access:  read_only
        .address_space:  global
        .offset:         0
        .size:           8
        .value_kind:     global_buffer
      - .offset:         8
        .size:           8
        .value_kind:     by_value
      - .actual_access:  read_only
        .address_space:  global
        .offset:         16
        .size:           8
        .value_kind:     global_buffer
      - .actual_access:  read_only
        .address_space:  global
        .offset:         24
        .size:           8
        .value_kind:     global_buffer
      - .actual_access:  read_only
        .address_space:  global
        .offset:         32
        .size:           8
        .value_kind:     global_buffer
      - .offset:         40
        .size:           8
        .value_kind:     by_value
      - .actual_access:  read_only
        .address_space:  global
        .offset:         48
        .size:           8
        .value_kind:     global_buffer
      - .actual_access:  read_only
        .address_space:  global
        .offset:         56
        .size:           8
        .value_kind:     global_buffer
      - .offset:         64
        .size:           4
        .value_kind:     by_value
      - .actual_access:  read_only
        .address_space:  global
        .offset:         72
        .size:           8
        .value_kind:     global_buffer
      - .actual_access:  read_only
        .address_space:  global
        .offset:         80
        .size:           8
        .value_kind:     global_buffer
      - .actual_access:  read_only
        .address_space:  global
        .offset:         88
        .size:           8
        .value_kind:     global_buffer
      - .actual_access:  write_only
        .address_space:  global
        .offset:         96
        .size:           8
        .value_kind:     global_buffer
    .group_segment_fixed_size: 0
    .kernarg_segment_align: 8
    .kernarg_segment_size: 104
    .language:       OpenCL C
    .language_version:
      - 2
      - 0
    .max_flat_workgroup_size: 195
    .name:           fft_rtc_back_len845_factors_13_5_13_wgs_195_tpt_65_halfLds_dp_op_CI_CI_unitstride_sbrr_dirReg
    .private_segment_fixed_size: 0
    .sgpr_count:     52
    .sgpr_spill_count: 0
    .symbol:         fft_rtc_back_len845_factors_13_5_13_wgs_195_tpt_65_halfLds_dp_op_CI_CI_unitstride_sbrr_dirReg.kd
    .uniform_work_group_size: 1
    .uses_dynamic_stack: false
    .vgpr_count:     180
    .vgpr_spill_count: 0
    .wavefront_size: 64
amdhsa.target:   amdgcn-amd-amdhsa--gfx906
amdhsa.version:
  - 1
  - 2
...

	.end_amdgpu_metadata
